;; amdgpu-corpus repo=ROCm/aiter kind=harvested arch=n/a opt=n/a

/root/src/amdgpu-assembly/repos/ROCm__aiter/hsa/gfx950/mla/mla_a16w16_qh64_qseqlen1_gqaratio64_v3.co:	file format elf64-amdgpu

Disassembly of section .text:

0000000000002500 <_ZN5aiter38mla_a16w16_qh64_qseqlen1_gqaratio64_v3E>:
	s_and_b32 s1, s1, 0xffff                                   // 000000002500: 8601FF01 0000FFFF
	s_load_dwordx2 s[8:9], s[0:1], 0x0                         // 000000002508: C0060200 00000000
	s_load_dwordx2 s[12:13], s[0:1], 0x10                      // 000000002510: C0060300 00000010
	s_load_dwordx2 s[16:17], s[0:1], 0x20                      // 000000002518: C0060400 00000020
	s_load_dwordx2 s[20:21], s[0:1], 0x30                      // 000000002520: C0060500 00000030
	s_load_dwordx2 s[28:29], s[0:1], 0x40                      // 000000002528: C0060700 00000040
	s_load_dwordx2 s[24:25], s[0:1], 0x50                      // 000000002530: C0060600 00000050
	s_load_dwordx2 s[30:31], s[0:1], 0x60                      // 000000002538: C0060780 00000060
	s_load_dword s64, s[0:1], 0x70                             // 000000002540: C0021000 00000070
	s_load_dword s65, s[0:1], 0x80                             // 000000002548: C0021040 00000080
	s_load_dword s92, s[0:1], 0x90                             // 000000002550: C0021700 00000090
	s_load_dword s66, s[0:1], 0xa0                             // 000000002558: C0021080 000000A0
	s_load_dword s68, s[0:1], 0xb0                             // 000000002560: C0021100 000000B0
	s_load_dword s69, s[0:1], 0xc0                             // 000000002568: C0021140 000000C0
	s_load_dwordx2 s[32:33], s[0:1], 0xd0                      // 000000002570: C0060800 000000D0
	s_load_dwordx2 s[88:89], s[0:1], 0xe0                      // 000000002578: C0061600 000000E0
	v_lshrrev_b32_e32 v1, 10, v0                               // 000000002580: 2002008A
	v_lshrrev_b32_e32 v2, 10, v1                               // 000000002584: 2004028A
	v_and_b32_e32 v2, 0x3ff, v2                                // 000000002588: 260404FF 000003FF
	v_and_b32_e32 v1, 0x3ff, v1                                // 000000002590: 260202FF 000003FF
	v_and_b32_e32 v0, 0x3ff, v0                                // 000000002598: 260000FF 000003FF
	v_lshrrev_b32_e32 v3, 6, v0                                // 0000000025A0: 20060086
	v_and_b32_e32 v0, 63, v0                                   // 0000000025A4: 260000BF
	s_mov_b32 s2, s2                                           // 0000000025A8: BE820002
	s_mov_b32 s3, s3                                           // 0000000025AC: BE830003
	s_mov_b32 s4, s4                                           // 0000000025B0: BE840004
	v_readfirstlane_b32 s7, v3                                 // 0000000025B4: 7E0E0503
	s_waitcnt lgkmcnt(0)                                       // 0000000025B8: BF8CC07F
	s_min_u32 s76, 16, s65                                     // 0000000025BC: 83CC4190
	s_mul_i32 s56, s3, 4                                       // 0000000025C0: 92388403
	s_and_b32 s29, s29, 0xffff                                 // 0000000025C4: 861DFF1D 0000FFFF
	s_and_b32 s31, s31, 0xffff                                 // 0000000025CC: 861FFF1F 0000FFFF
	s_add_u32 s28, s56, s28                                    // 0000000025D4: 801C1C38
	s_addc_u32 s29, 0, s29                                     // 0000000025D8: 821D1D80
	s_load_dword s47, s[28:29], 0x0                            // 0000000025DC: C0020BCE 00000000
	s_load_dword s46, s[28:29], 0x4                            // 0000000025E4: C0020B8E 00000004
	s_mul_i32 s56, s3, 4                                       // 0000000025EC: 92388403
	s_and_b32 s89, s89, 0xffff                                 // 0000000025F0: 8659FF59 0000FFFF
	s_add_u32 s88, s56, s88                                    // 0000000025F8: 80585838
	s_addc_u32 s89, 0, s89                                     // 0000000025FC: 82595980
	s_load_dword s86, s[88:89], 0x0                            // 000000002600: C00215AC 00000000
	s_load_dword s85, s[88:89], 0x4                            // 000000002608: C002156C 00000004
	s_and_b32 s33, s33, 0xffff                                 // 000000002610: 8621FF21 0000FFFF
	s_add_u32 s32, s56, s32                                    // 000000002618: 80202038
	s_addc_u32 s33, 0, s33                                     // 00000000261C: 82212180
	s_load_dword s79, s[32:33], 0x0                            // 000000002620: C00213D0 00000000
	s_load_dword s78, s[32:33], 0x4                            // 000000002628: C0021390 00000004
	s_waitcnt lgkmcnt(0)                                       // 000000002630: BF8CC07F
	s_sub_u32 s87, s85, s86                                    // 000000002634: 80D75655
	s_cmp_le_u32 s87, s4                                       // 000000002638: BF0B0457
	s_cbranch_scc1 label_BE5C                                  // 00000000263C: BF852EC5
	s_mov_b32 s67, s87                                         // 000000002640: BEC30057
	s_sub_u32 s81, s78, s79                                    // 000000002644: 80D14F4E
	s_mul_i32 s56, 0x800, s65                                  // 000000002648: 923841FF 00000800
	s_mul_i32 s57, 0x400, s65                                  // 000000002650: 923941FF 00000400
	s_cmp_eq_u32 s67, 1                                        // 000000002658: BF068143
	s_cselect_b32 s75, s57, s56                                // 00000000265C: 854B3839
	s_mul_i32 s74, 0x480, s65                                  // 000000002660: 924A41FF 00000480
	s_mul_i32 s56, 4, s65                                      // 000000002668: 92384184
	s_mov_b32 s10, s75                                         // 00000000266C: BE8A004B
	s_mov_b32 s18, s74                                         // 000000002670: BE92004A
	s_mov_b32 s14, s56                                         // 000000002674: BE8E0038
	s_mov_b32 s22, -16                                         // 000000002678: BE9600D0
	s_mov_b32 s26, -16                                         // 00000000267C: BE9A00D0
	s_mov_b32 s11, 0x20000                                     // 000000002680: BE8B00FF 00020000
	s_mov_b32 s19, 0x20000                                     // 000000002688: BE9300FF 00020000
	s_mov_b32 s15, 0x20000                                     // 000000002690: BE8F00FF 00020000
	s_mov_b32 s23, 0x20000                                     // 000000002698: BE9700FF 00020000
	s_mov_b32 s27, 0x20000                                     // 0000000026A0: BE9B00FF 00020000
	s_and_b32 s9, s9, 0xffff                                   // 0000000026A8: 8609FF09 0000FFFF
	s_and_b32 s17, s17, 0xffff                                 // 0000000026B0: 8611FF11 0000FFFF
	s_and_b32 s13, s13, 0xffff                                 // 0000000026B8: 860DFF0D 0000FFFF
	s_and_b32 s21, s21, 0xffff                                 // 0000000026C0: 8615FF15 0000FFFF
	s_and_b32 s25, s25, 0xffff                                 // 0000000026C8: 8619FF19 0000FFFF
	s_or_b32 s9, s9, 0x40000                                   // 0000000026D0: 8709FF09 00040000
	s_or_b32 s17, s17, 0x40000                                 // 0000000026D8: 8711FF11 00040000
	s_or_b32 s13, s13, 0x40000                                 // 0000000026E0: 870DFF0D 00040000
	s_or_b32 s21, s21, 0x40000                                 // 0000000026E8: 8715FF15 00040000
	s_or_b32 s25, s25, 0x40000                                 // 0000000026F0: 8719FF19 00040000
	s_waitcnt lgkmcnt(0)                                       // 0000000026F8: BF8CC07F
	s_mov_b32 s69, 0                                           // 0000000026FC: BEC50080
	s_lshr_b32 s44, 32, s69                                    // 000000002700: 8F2C45A0
	s_mul_i32 s73, s44, 4                                      // 000000002704: 9249842C
	s_mul_i32 s73, s73, s67                                    // 000000002708: 92494349
	s_mul_i32 s45, s4, s44                                     // 00000000270C: 922D2C04
	s_sub_u32 s50, s46, s47                                    // 000000002710: 80B22F2E
	s_cmp_le_u32 s50, s45                                      // 000000002714: BF0B2D32
	s_cbranch_scc1 label_BE5C                                  // 000000002718: BF852E8E
	s_mul_i32 s56, s50, 4                                      // 00000000271C: 92388432
	s_mov_b32 s26, s56                                         // 000000002720: BE9A0038
	s_mul_i32 s56, s47, 4                                      // 000000002724: 9238842F
	s_add_u32 s24, s56, s24                                    // 000000002728: 80181838
	s_addc_u32 s25, 0, s25                                     // 00000000272C: 82191980
	s_mov_b32 s70, 0                                           // 000000002730: BEC60080
	s_sub_u32 s71, s50, s45                                    // 000000002734: 80C72D32
	s_mul_i32 s37, s67, s44                                    // 000000002738: 92252C43
	s_mov_b32 s36, s71                                         // 00000000273C: BEA40047
	v_cvt_f32_u32_e32 v28, s37                                 // 000000002740: 7E380C25
	s_sub_i32 s56, 0, s37                                      // 000000002744: 81B82580
	v_rcp_iflag_f32_e32 v28, v28                               // 000000002748: 7E38471C
	s_nop 0                                                    // 00000000274C: BF800000
	v_mul_f32_e32 v28, 0x4f7ffffe, v28                         // 000000002750: 0A3838FF 4F7FFFFE
	v_cvt_u32_f32_e32 v28, v28                                 // 000000002758: 7E380F1C
	v_mul_lo_u32 v29, s56, v28                                 // 00000000275C: D285001D 00023838
	v_mul_hi_u32 v29, v28, v29                                 // 000000002764: D286001D 00023B1C
	v_add_u32_e32 v28, v28, v29                                // 00000000276C: 68383B1C
	v_mul_hi_u32 v28, s36, v28                                 // 000000002770: D286001C 00023824
	v_mul_lo_u32 v29, v28, s37                                 // 000000002778: D285001D 00004B1C
	v_sub_u32_e32 v31, s36, v29                                // 000000002780: 6A3E3A24
	v_add_u32_e32 v30, 1, v28                                  // 000000002784: 683C3881
	v_cmp_le_u32_e32 vcc, s37, v31                             // 000000002788: 7D963E25
	v_subrev_u32_e32 v29, s37, v31                             // 00000000278C: 6C3A3E25
	s_nop 0                                                    // 000000002790: BF800000
	v_cndmask_b32_e32 v28, v28, v30, vcc                       // 000000002794: 00383D1C
	v_cndmask_b32_e32 v31, v31, v29, vcc                       // 000000002798: 003E3B1F
	v_add_u32_e32 v29, 1, v28                                  // 00000000279C: 683A3881
	v_cmp_le_u32_e32 vcc, s37, v31                             // 0000000027A0: 7D963E25
	s_nop 1                                                    // 0000000027A4: BF800001
	v_cndmask_b32_e32 v31, v28, v29, vcc                       // 0000000027A8: 003E3B1C
	s_nop 3                                                    // 0000000027AC: BF800003
	v_readfirstlane_b32 s38, v31                               // 0000000027B0: 7E4C051F
	s_nop 3                                                    // 0000000027B4: BF800003
	s_mov_b32 s71, s38                                         // 0000000027B8: BEC70026
	s_mul_i32 s56, s71, s37                                    // 0000000027BC: 92382547
	s_sub_u32 s56, s36, s56                                    // 0000000027C0: 80B83824
	s_mov_b32 s57, 0                                           // 0000000027C4: BEB90080
	s_cmp_lt_u32 s56, s44                                      // 0000000027C8: BF0A2C38
	s_cselect_b32 s57, s57, 1                                  // 0000000027CC: 85398139
	s_add_u32 s71, s57, s71                                    // 0000000027D0: 80474739
	s_cmpk_eq_u32 s57, 0x1                                     // 0000000027D4: B4390001
	s_cselect_b32 s49, 0, s56                                  // 0000000027D8: 85313880
	s_mov_b32 s48, s49                                         // 0000000027DC: BEB00031
	v_lshrrev_b32_e32 v28, 2, v0                               // 0000000027E0: 20380082
	s_lshr_b32 s57, s7, 1                                      // 0000000027E4: 8F398107
	s_mul_i32 s56, 16, s57                                     // 0000000027E8: 92383990
	v_add_u32_e64 v26, v28, s56                                // 0000000027EC: D134001A 0000711C
	v_add_u32_e32 v26, s45, v26                                // 0000000027F4: 6834342D
	v_lshlrev_b32_e32 v26, 2, v26                              // 0000000027F8: 24343482
	buffer_load_dword v22, v26, s[24:27], 0 offen              // 0000000027FC: E0501000 8006161A
	v_add_u32_e32 v26, s73, v26                                // 000000002804: 68343449
	buffer_load_dword v23, v26, s[24:27], 0 offen              // 000000002808: E0501000 8006171A
	v_add_u32_e32 v26, s73, v26                                // 000000002810: 68343449
	s_mul_i32 s56, s3, s66                                     // 000000002814: 92384203
	s_add_u32 s16, s56, s16                                    // 000000002818: 80101038
	s_addc_u32 s17, 0, s17                                     // 00000000281C: 82111180
	s_mul_i32 s56, s7, 0x400                                   // 000000002820: 9238FF07 00000400
	s_add_u32 m0, 0, s56                                       // 000000002828: 807C3880
	v_and_b32_e32 v28, 3, v0                                   // 00000000282C: 26380083
	v_mov_b32_e32 v29, 0                                       // 000000002830: 7E3A0280
	s_mov_b32 s56, 0                                           // 000000002834: BEB80080
	s_mov_b32 s57, -1                                          // 000000002838: BEB900C1
	v_cndmask_b32_e64 v30, v29, v28, s[56:57]                  // 00000000283C: D100001E 00E2391D
	s_nop 2                                                    // 000000002844: BF800002
	v_mov_b32_dpp v30, v30 quad_perm:[2,3,0,1] row_mask:0xf bank_mask:0xf// 000000002848: 7E3C02FA FF004E1E
	v_cndmask_b32_e64 v31, v28, v30, s[56:57]                  // 000000002850: D100001F 00E23D1C
	v_lshlrev_b32_e32 v31, 4, v31                              // 000000002858: 243E3E84
	v_mov_b32_e32 v1, v31                                      // 00000000285C: 7E02031F
	s_and_b32 s56, 1, s7                                       // 000000002860: 86380781
	s_mul_i32 s56, s56, 0x240                                  // 000000002864: 9238FF38 00000240
	v_add_u32_e64 v1, v1, s56                                  // 00000000286C: D1340001 00007101
	v_lshrrev_b32_e32 v28, 2, v0                               // 000000002874: 20380082
	s_mov_b32 s56, 0x480                                       // 000000002878: BEB800FF 00000480
	v_mul_i32_i24_e64 v28, v28, s56                            // 000000002880: D106001C 0000711C
	s_mul_i32 s56, s7, 64                                      // 000000002888: 9238C007
	v_add_u32_e32 v29, v28, v31                                // 00000000288C: 683A3F1C
	v_add_u32_e64 v29, v29, s56                                // 000000002890: D134001D 0000711D
	buffer_load_dwordx4 v29, s[16:19], 0 offen lds             // 000000002898: E05D1000 8004001D
	s_add_u32 m0, m0, 0x1000                                   // 0000000028A0: 807CFF7C 00001000
	v_add_u32_e32 v29, 0x100, v29                              // 0000000028A8: 683A3AFF 00000100
	buffer_load_dwordx4 v29, s[16:19], 0 offen lds             // 0000000028B0: E05D1000 8004001D
	s_add_u32 m0, m0, 0x1000                                   // 0000000028B8: 807CFF7C 00001000
	v_add_u32_e32 v29, 0x100, v29                              // 0000000028C0: 683A3AFF 00000100
	buffer_load_dwordx4 v29, s[16:19], 0 offen lds             // 0000000028C8: E05D1000 8004001D
	s_add_u32 m0, m0, 0x1000                                   // 0000000028D0: 807CFF7C 00001000
	v_add_u32_e32 v29, 0x100, v29                              // 0000000028D8: 683A3AFF 00000100
	buffer_load_dwordx4 v29, s[16:19], 0 offen lds             // 0000000028E0: E05D1000 8004001D
	s_add_u32 m0, m0, 0x1000                                   // 0000000028E8: 807CFF7C 00001000
	v_add_u32_e32 v29, 0x100, v29                              // 0000000028F0: 683A3AFF 00000100
	buffer_load_dwordx4 v29, s[16:19], 0 offen lds             // 0000000028F8: E05D1000 8004001D
	s_add_u32 m0, m0, 0x1000                                   // 000000002900: 807CFF7C 00001000
	v_add_u32_e32 v29, 0x100, v29                              // 000000002908: 683A3AFF 00000100
	v_add_u32_e32 v29, 0x4300, v29                             // 000000002910: 683A3AFF 00004300
	buffer_load_dwordx4 v29, s[16:19], 0 offen lds             // 000000002918: E05D1000 8004001D
	s_add_u32 m0, m0, 0x1000                                   // 000000002920: 807CFF7C 00001000
	v_add_u32_e32 v29, 0x100, v29                              // 000000002928: 683A3AFF 00000100
	buffer_load_dwordx4 v29, s[16:19], 0 offen lds             // 000000002930: E05D1000 8004001D
	s_add_u32 m0, m0, 0x1000                                   // 000000002938: 807CFF7C 00001000
	v_add_u32_e32 v29, 0x100, v29                              // 000000002940: 683A3AFF 00000100
	;; [unrolled: 3-line block ×5, first 2 shown]
	v_add_u32_e32 v29, 0x4300, v29                             // 000000002990: 683A3AFF 00004300
	buffer_load_dwordx4 v29, s[16:19], 0 offen lds             // 000000002998: E05D1000 8004001D
	s_add_u32 m0, m0, 0x1000                                   // 0000000029A0: 807CFF7C 00001000
	v_add_u32_e32 v29, 0x100, v29                              // 0000000029A8: 683A3AFF 00000100
	buffer_load_dwordx4 v29, s[16:19], 0 offen lds             // 0000000029B0: E05D1000 8004001D
	s_add_u32 m0, m0, 0x1000                                   // 0000000029B8: 807CFF7C 00001000
	v_add_u32_e32 v29, 0x100, v29                              // 0000000029C0: 683A3AFF 00000100
	buffer_load_dwordx4 v29, s[16:19], 0 offen lds             // 0000000029C8: E05D1000 8004001D
	s_add_u32 m0, m0, 0x1000                                   // 0000000029D0: 807CFF7C 00001000
	v_add_u32_e32 v29, 0x100, v29                              // 0000000029D8: 683A3AFF 00000100
	buffer_load_dwordx4 v29, s[16:19], 0 offen lds             // 0000000029E0: E05D1000 8004001D
	s_add_u32 m0, m0, 0x1000                                   // 0000000029E8: 807CFF7C 00001000
	v_add_u32_e32 v29, 0x100, v29                              // 0000000029F0: 683A3AFF 00000100
	buffer_load_dwordx4 v29, s[16:19], 0 offen lds             // 0000000029F8: E05D1000 8004001D
	s_add_u32 m0, m0, 0x1000                                   // 000000002A00: 807CFF7C 00001000
	v_add_u32_e32 v29, 0x100, v29                              // 000000002A08: 683A3AFF 00000100
	v_add_u32_e32 v29, 0x4300, v29                             // 000000002A10: 683A3AFF 00004300
	buffer_load_dwordx4 v29, s[16:19], 0 offen lds             // 000000002A18: E05D1000 8004001D
	s_add_u32 m0, m0, 0x1000                                   // 000000002A20: 807CFF7C 00001000
	v_add_u32_e32 v29, 0x100, v29                              // 000000002A28: 683A3AFF 00000100
	buffer_load_dwordx4 v29, s[16:19], 0 offen lds             // 000000002A30: E05D1000 8004001D
	s_add_u32 m0, m0, 0x1000                                   // 000000002A38: 807CFF7C 00001000
	v_add_u32_e32 v29, 0x100, v29                              // 000000002A40: 683A3AFF 00000100
	buffer_load_dwordx4 v29, s[16:19], 0 offen lds             // 000000002A48: E05D1000 8004001D
	s_add_u32 m0, m0, 0x1000                                   // 000000002A50: 807CFF7C 00001000
	v_add_u32_e32 v29, 0x100, v29                              // 000000002A58: 683A3AFF 00000100
	buffer_load_dwordx4 v29, s[16:19], 0 offen lds             // 000000002A60: E05D1000 8004001D
	s_add_u32 m0, m0, 0x1000                                   // 000000002A68: 807CFF7C 00001000
	v_add_u32_e32 v29, 0x100, v29                              // 000000002A70: 683A3AFF 00000100
	buffer_load_dwordx4 v29, s[16:19], 0 offen lds             // 000000002A78: E05D1000 8004001D
	s_add_u32 m0, m0, 0x1000                                   // 000000002A80: 807CFF7C 00001000
	v_add_u32_e32 v29, 0x100, v29                              // 000000002A88: 683A3AFF 00000100
	v_add_u32_e32 v29, 0x4300, v29                             // 000000002A90: 683A3AFF 00004300
	s_mov_b32 s52, 0x7060302                                   // 000000002A98: BEB400FF 07060302
	s_mov_b32 s53, 0x5040100                                   // 000000002AA0: BEB500FF 05040100
	s_mul_i32 s51, s7, 4                                       // 000000002AA8: 92338407
	s_mov_b32 s6, 0x3fb8aa3b                                   // 000000002AAC: BE8600FF 3FB8AA3B
	v_mov_b32_e32 v29, s6                                      // 000000002AB4: 7E3A0206
	v_mov_b32_e32 v28, s64                                     // 000000002AB8: 7E380240
	v_mul_f32_e32 v28, s6, v28                                 // 000000002ABC: 0A383806
	v_rcp_f32_e32 v29, v29                                     // 000000002AC0: 7E3A451D
	v_mov_b32_e32 v2, 0xff800000                               // 000000002AC4: 7E0402FF FF800000
	v_mov_b32_e32 v16, 0                                       // 000000002ACC: 7E200280
	v_mov_b32_e32 v4, 0                                        // 000000002AD0: 7E080280
	v_readfirstlane_b32 s5, v28                                // 000000002AD4: 7E0A051C
	v_readfirstlane_b32 s63, v29                               // 000000002AD8: 7E7E051D
	s_waitcnt vmcnt(20)                                        // 000000002ADC: BF8C4F74
	v_mul_u32_u24_e64 v32, v22, s68                            // 000000002AE0: D1080020 00008916
	v_add_u32_e32 v32, v32, v1                                 // 000000002AE8: 68400320
	s_mov_b32 s56, 0x14000                                     // 000000002AEC: BEB800FF 00014000
	s_mul_i32 s57, s7, 0x2400                                  // 000000002AF4: 9239FF07 00002400
	s_add_u32 m0, s56, s57                                     // 000000002AFC: 807C3938
	buffer_load_dwordx4 v32, s[20:23], 0 offen lds             // 000000002B00: E05D1000 80050020
	s_add_i32 m0, m0, 0x3c0                                    // 000000002B08: 817CFF7C 000003C0
	buffer_load_dwordx4 v32, s[20:23], 0 offen offset:64 lds   // 000000002B10: E05D1040 80050020
	s_add_i32 m0, m0, 0x3c0                                    // 000000002B18: 817CFF7C 000003C0
	buffer_load_dwordx4 v32, s[20:23], 0 offen offset:128 lds  // 000000002B20: E05D1080 80050020
	s_add_i32 m0, m0, 0x3c0                                    // 000000002B28: 817CFF7C 000003C0
	buffer_load_dwordx4 v32, s[20:23], 0 offen offset:192 lds  // 000000002B30: E05D10C0 80050020
	s_add_i32 m0, m0, 0x3c0                                    // 000000002B38: 817CFF7C 000003C0
	buffer_load_dwordx4 v32, s[20:23], 0 offen offset:256 lds  // 000000002B40: E05D1100 80050020
	s_add_i32 m0, m0, 0x3c0                                    // 000000002B48: 817CFF7C 000003C0
	buffer_load_dwordx4 v32, s[20:23], 0 offen offset:320 lds  // 000000002B50: E05D1140 80050020
	s_add_i32 m0, m0, 0x3c0                                    // 000000002B58: 817CFF7C 000003C0
	buffer_load_dwordx4 v32, s[20:23], 0 offen offset:384 lds  // 000000002B60: E05D1180 80050020
	s_add_i32 m0, m0, 0x3c0                                    // 000000002B68: 817CFF7C 000003C0
	buffer_load_dwordx4 v32, s[20:23], 0 offen offset:448 lds  // 000000002B70: E05D11C0 80050020
	s_add_i32 m0, m0, 0x3c0                                    // 000000002B78: 817CFF7C 000003C0
	buffer_load_dwordx4 v32, s[20:23], 0 offen offset:512 lds  // 000000002B80: E05D1200 80050020
	s_add_i32 m0, m0, 0x3c0                                    // 000000002B88: 817CFF7C 000003C0
	buffer_load_dword v24, v26, s[24:27], 0 offen              // 000000002B90: E0501000 8006181A
	v_add_u32_e32 v26, s73, v26                                // 000000002B98: 68343449
	v_lshrrev_b32_e32 v28, 4, v0                               // 000000002B9C: 20380084
	v_lshlrev_b32_e32 v28, 2, v28                              // 000000002BA0: 24383882
	v_sub_u32_e32 v29, 12, v28                                 // 000000002BA4: 6A3A388C
	v_mov_b32_e32 v30, v29                                     // 000000002BA8: 7E3C031D
	s_nop 1                                                    // 000000002BAC: BF800001
	v_permlane16_swap_b32_e32 v29, v30                         // 000000002BB0: 7E3AB31E
	s_nop 1                                                    // 000000002BB4: BF800001
	v_permlane16_swap_b32_e32 v30, v29                         // 000000002BB8: 7E3CB31D
	s_mov_b32 s56, 0xff00ff00                                  // 000000002BBC: BEB800FF FF00FF00
	s_mov_b32 s57, 0xff00ff00                                  // 000000002BC4: BEB900FF FF00FF00
	v_cndmask_b32_e64 v30, v28, v29, s[56:57]                  // 000000002BCC: D100001E 00E23B1C
	v_and_b32_e32 v28, 15, v0                                  // 000000002BD4: 2638008F
	v_lshlrev_b32_e32 v28, 4, v28                              // 000000002BD8: 24383884
	v_add_u32_e32 v6, v28, v30                                 // 000000002BDC: 680C3D1C
	v_lshlrev_b32_e32 v6, 2, v6                                // 000000002BE0: 240C0C82
	s_mul_i32 s56, s7, 0x5000                                  // 000000002BE4: 9238FF07 00005000
	v_add_u32_e32 v6, s56, v6                                  // 000000002BEC: 680C0C38
	s_waitcnt vmcnt(10)                                        // 000000002BF0: BF8C0F7A
	s_barrier                                                  // 000000002BF4: BF8A0000
	ds_read_b128 a[0:3], v6                                    // 000000002BF8: DBFE0000 00000006
	ds_read_b128 a[4:7], v6 offset:1024                        // 000000002C00: DBFE0400 04000006
	ds_read_b128 a[8:11], v6 offset:2048                       // 000000002C08: DBFE0800 08000006
	ds_read_b128 a[12:15], v6 offset:3072                      // 000000002C10: DBFE0C00 0C000006
	ds_read_b128 a[16:19], v6 offset:4096                      // 000000002C18: DBFE1000 10000006
	ds_read_b128 a[20:23], v6 offset:5120                      // 000000002C20: DBFE1400 14000006
	ds_read_b128 a[24:27], v6 offset:6144                      // 000000002C28: DBFE1800 18000006
	ds_read_b128 a[28:31], v6 offset:7168                      // 000000002C30: DBFE1C00 1C000006
	ds_read_b128 a[32:35], v6 offset:8192                      // 000000002C38: DBFE2000 20000006
	ds_read_b128 a[36:39], v6 offset:9216                      // 000000002C40: DBFE2400 24000006
	ds_read_b128 a[40:43], v6 offset:10240                     // 000000002C48: DBFE2800 28000006
	ds_read_b128 a[44:47], v6 offset:11264                     // 000000002C50: DBFE2C00 2C000006
	ds_read_b128 a[48:51], v6 offset:12288                     // 000000002C58: DBFE3000 30000006
	ds_read_b128 a[52:55], v6 offset:13312                     // 000000002C60: DBFE3400 34000006
	ds_read_b128 a[56:59], v6 offset:14336                     // 000000002C68: DBFE3800 38000006
	ds_read_b128 a[60:63], v6 offset:15360                     // 000000002C70: DBFE3C00 3C000006
	ds_read_b128 a[64:67], v6 offset:16384                     // 000000002C78: DBFE4000 40000006
	ds_read_b128 a[68:71], v6 offset:17408                     // 000000002C80: DBFE4400 44000006
	v_mov_b32_e32 v50, 0                                       // 000000002C88: 7E640280
	v_mov_b32_e32 v51, 0                                       // 000000002C8C: 7E660280
	v_mov_b32_e32 v52, 0                                       // 000000002C90: 7E680280
	v_mov_b32_e32 v53, 0                                       // 000000002C94: 7E6A0280
	v_mov_b32_e32 v54, 0                                       // 000000002C98: 7E6C0280
	v_mov_b32_e32 v55, 0                                       // 000000002C9C: 7E6E0280
	v_mov_b32_e32 v56, 0                                       // 000000002CA0: 7E700280
	v_mov_b32_e32 v57, 0                                       // 000000002CA4: 7E720280
	v_mov_b32_e32 v58, 0                                       // 000000002CA8: 7E740280
	v_mov_b32_e32 v59, 0                                       // 000000002CAC: 7E760280
	v_mov_b32_e32 v60, 0                                       // 000000002CB0: 7E780280
	v_mov_b32_e32 v61, 0                                       // 000000002CB4: 7E7A0280
	v_mov_b32_e32 v62, 0                                       // 000000002CB8: 7E7C0280
	v_mov_b32_e32 v63, 0                                       // 000000002CBC: 7E7E0280
	v_mov_b32_e32 v64, 0                                       // 000000002CC0: 7E800280
	v_mov_b32_e32 v65, 0                                       // 000000002CC4: 7E820280
	v_mov_b32_e32 v66, 0                                       // 000000002CC8: 7E840280
	v_mov_b32_e32 v67, 0                                       // 000000002CCC: 7E860280
	v_mov_b32_e32 v68, 0                                       // 000000002CD0: 7E880280
	v_mov_b32_e32 v69, 0                                       // 000000002CD4: 7E8A0280
	v_mov_b32_e32 v70, 0                                       // 000000002CD8: 7E8C0280
	v_mov_b32_e32 v71, 0                                       // 000000002CDC: 7E8E0280
	v_mov_b32_e32 v72, 0                                       // 000000002CE0: 7E900280
	v_mov_b32_e32 v73, 0                                       // 000000002CE4: 7E920280
	v_mov_b32_e32 v74, 0                                       // 000000002CE8: 7E940280
	v_mov_b32_e32 v75, 0                                       // 000000002CEC: 7E960280
	v_mov_b32_e32 v76, 0                                       // 000000002CF0: 7E980280
	v_mov_b32_e32 v77, 0                                       // 000000002CF4: 7E9A0280
	v_mov_b32_e32 v78, 0                                       // 000000002CF8: 7E9C0280
	v_mov_b32_e32 v79, 0                                       // 000000002CFC: 7E9E0280
	v_mov_b32_e32 v80, 0                                       // 000000002D00: 7EA00280
	v_mov_b32_e32 v81, 0                                       // 000000002D04: 7EA20280
	v_mov_b32_e32 v82, 0                                       // 000000002D08: 7EA40280
	v_mov_b32_e32 v83, 0                                       // 000000002D0C: 7EA60280
	v_mov_b32_e32 v84, 0                                       // 000000002D10: 7EA80280
	v_mov_b32_e32 v85, 0                                       // 000000002D14: 7EAA0280
	v_mov_b32_e32 v86, 0                                       // 000000002D18: 7EAC0280
	v_mov_b32_e32 v87, 0                                       // 000000002D1C: 7EAE0280
	v_mov_b32_e32 v88, 0                                       // 000000002D20: 7EB00280
	v_mov_b32_e32 v89, 0                                       // 000000002D24: 7EB20280
	v_mov_b32_e32 v90, 0                                       // 000000002D28: 7EB40280
	v_mov_b32_e32 v91, 0                                       // 000000002D2C: 7EB60280
	v_mov_b32_e32 v92, 0                                       // 000000002D30: 7EB80280
	v_mov_b32_e32 v93, 0                                       // 000000002D34: 7EBA0280
	v_mov_b32_e32 v94, 0                                       // 000000002D38: 7EBC0280
	v_mov_b32_e32 v95, 0                                       // 000000002D3C: 7EBE0280
	v_mov_b32_e32 v96, 0                                       // 000000002D40: 7EC00280
	v_mov_b32_e32 v97, 0                                       // 000000002D44: 7EC20280
	v_mov_b32_e32 v98, 0                                       // 000000002D48: 7EC40280
	v_mov_b32_e32 v99, 0                                       // 000000002D4C: 7EC60280
	v_mov_b32_e32 v100, 0                                      // 000000002D50: 7EC80280
	v_mov_b32_e32 v101, 0                                      // 000000002D54: 7ECA0280
	v_mov_b32_e32 v102, 0                                      // 000000002D58: 7ECC0280
	v_mov_b32_e32 v103, 0                                      // 000000002D5C: 7ECE0280
	v_mov_b32_e32 v104, 0                                      // 000000002D60: 7ED00280
	v_mov_b32_e32 v105, 0                                      // 000000002D64: 7ED20280
	v_mov_b32_e32 v106, 0                                      // 000000002D68: 7ED40280
	v_mov_b32_e32 v107, 0                                      // 000000002D6C: 7ED60280
	v_mov_b32_e32 v108, 0                                      // 000000002D70: 7ED80280
	v_mov_b32_e32 v109, 0                                      // 000000002D74: 7EDA0280
	v_mov_b32_e32 v110, 0                                      // 000000002D78: 7EDC0280
	v_mov_b32_e32 v111, 0                                      // 000000002D7C: 7EDE0280
	v_mov_b32_e32 v112, 0                                      // 000000002D80: 7EE00280
	v_mov_b32_e32 v113, 0                                      // 000000002D84: 7EE20280
	v_mov_b32_e32 v114, 0                                      // 000000002D88: 7EE40280
	v_mov_b32_e32 v115, 0                                      // 000000002D8C: 7EE60280
	v_mov_b32_e32 v116, 0                                      // 000000002D90: 7EE80280
	v_mov_b32_e32 v117, 0                                      // 000000002D94: 7EEA0280
	v_mov_b32_e32 v118, 0                                      // 000000002D98: 7EEC0280
	v_mov_b32_e32 v119, 0                                      // 000000002D9C: 7EEE0280
	v_mov_b32_e32 v120, 0                                      // 000000002DA0: 7EF00280
	v_mov_b32_e32 v121, 0                                      // 000000002DA4: 7EF20280
	v_mov_b32_e32 v122, 0                                      // 000000002DA8: 7EF40280
	v_mov_b32_e32 v123, 0                                      // 000000002DAC: 7EF60280
	v_mov_b32_e32 v124, 0                                      // 000000002DB0: 7EF80280
	v_mov_b32_e32 v125, 0                                      // 000000002DB4: 7EFA0280
	v_mov_b32_e32 v126, 0                                      // 000000002DB8: 7EFC0280
	v_mov_b32_e32 v127, 0                                      // 000000002DBC: 7EFE0280
	v_mov_b32_e32 v128, 0                                      // 000000002DC0: 7F000280
	v_mov_b32_e32 v129, 0                                      // 000000002DC4: 7F020280
	v_mov_b32_e32 v130, 0                                      // 000000002DC8: 7F040280
	v_mov_b32_e32 v131, 0                                      // 000000002DCC: 7F060280
	v_mov_b32_e32 v132, 0                                      // 000000002DD0: 7F080280
	v_mov_b32_e32 v133, 0                                      // 000000002DD4: 7F0A0280
	v_mov_b32_e32 v134, 0                                      // 000000002DD8: 7F0C0280
	v_mov_b32_e32 v135, 0                                      // 000000002DDC: 7F0E0280
	v_mov_b32_e32 v136, 0                                      // 000000002DE0: 7F100280
	v_mov_b32_e32 v137, 0                                      // 000000002DE4: 7F120280
	v_mov_b32_e32 v138, 0                                      // 000000002DE8: 7F140280
	v_mov_b32_e32 v139, 0                                      // 000000002DEC: 7F160280
	v_mov_b32_e32 v140, 0                                      // 000000002DF0: 7F180280
	v_mov_b32_e32 v141, 0                                      // 000000002DF4: 7F1A0280
	v_mov_b32_e32 v142, 0                                      // 000000002DF8: 7F1C0280
	v_mov_b32_e32 v143, 0                                      // 000000002DFC: 7F1E0280
	v_mov_b32_e32 v144, 0                                      // 000000002E00: 7F200280
	v_mov_b32_e32 v145, 0                                      // 000000002E04: 7F220280
	v_mov_b32_e32 v146, 0                                      // 000000002E08: 7F240280
	v_mov_b32_e32 v147, 0                                      // 000000002E0C: 7F260280
	v_mov_b32_e32 v148, 0                                      // 000000002E10: 7F280280
	v_mov_b32_e32 v149, 0                                      // 000000002E14: 7F2A0280
	v_mov_b32_e32 v150, 0                                      // 000000002E18: 7F2C0280
	v_mov_b32_e32 v151, 0                                      // 000000002E1C: 7F2E0280
	v_mov_b32_e32 v152, 0                                      // 000000002E20: 7F300280
	v_mov_b32_e32 v153, 0                                      // 000000002E24: 7F320280
	v_mov_b32_e32 v154, 0                                      // 000000002E28: 7F340280
	v_mov_b32_e32 v155, 0                                      // 000000002E2C: 7F360280
	v_mov_b32_e32 v156, 0                                      // 000000002E30: 7F380280
	v_mov_b32_e32 v157, 0                                      // 000000002E34: 7F3A0280
	v_mov_b32_e32 v158, 0                                      // 000000002E38: 7F3C0280
	v_mov_b32_e32 v159, 0                                      // 000000002E3C: 7F3E0280
	v_mov_b32_e32 v160, 0                                      // 000000002E40: 7F400280
	v_mov_b32_e32 v161, 0                                      // 000000002E44: 7F420280
	v_mov_b32_e32 v162, 0                                      // 000000002E48: 7F440280
	v_mov_b32_e32 v163, 0                                      // 000000002E4C: 7F460280
	v_mov_b32_e32 v164, 0                                      // 000000002E50: 7F480280
	v_mov_b32_e32 v165, 0                                      // 000000002E54: 7F4A0280
	v_mov_b32_e32 v166, 0                                      // 000000002E58: 7F4C0280
	v_mov_b32_e32 v167, 0                                      // 000000002E5C: 7F4E0280
	v_mov_b32_e32 v168, 0                                      // 000000002E60: 7F500280
	v_mov_b32_e32 v169, 0                                      // 000000002E64: 7F520280
	v_mov_b32_e32 v170, 0                                      // 000000002E68: 7F540280
	v_mov_b32_e32 v171, 0                                      // 000000002E6C: 7F560280
	v_mov_b32_e32 v172, 0                                      // 000000002E70: 7F580280
	v_mov_b32_e32 v173, 0                                      // 000000002E74: 7F5A0280
	v_mov_b32_e32 v174, 0                                      // 000000002E78: 7F5C0280
	v_mov_b32_e32 v175, 0                                      // 000000002E7C: 7F5E0280
	v_mov_b32_e32 v176, 0                                      // 000000002E80: 7F600280
	v_mov_b32_e32 v177, 0                                      // 000000002E84: 7F620280
	v_lshrrev_b32_e32 v28, 4, v0                               // 000000002E88: 20380084
	v_lshlrev_b32_e32 v28, 2, v28                              // 000000002E8C: 24383882
	v_sub_u32_e32 v29, 12, v28                                 // 000000002E90: 6A3A388C
	v_mov_b32_e32 v30, v29                                     // 000000002E94: 7E3C031D
	s_nop 1                                                    // 000000002E98: BF800001
	v_permlane16_swap_b32_e32 v29, v30                         // 000000002E9C: 7E3AB31E
	s_nop 1                                                    // 000000002EA0: BF800001
	v_permlane16_swap_b32_e32 v30, v29                         // 000000002EA4: 7E3CB31D
	s_mov_b32 s56, 0xff00ff00                                  // 000000002EA8: BEB800FF FF00FF00
	s_mov_b32 s57, 0xff00ff00                                  // 000000002EB0: BEB900FF FF00FF00
	v_cndmask_b32_e64 v30, v28, v29, s[56:57]                  // 000000002EB8: D100001E 00E23B1C
	v_and_b32_e32 v28, 15, v0                                  // 000000002EC0: 2638008F
	v_lshlrev_b32_e32 v28, 4, v28                              // 000000002EC4: 24383884
	v_add_u32_e32 v18, v28, v30                                // 000000002EC8: 68243D1C
	v_lshlrev_b32_e32 v19, 2, v18                              // 000000002ECC: 24262482
	s_mov_b32 s56, 0x2000                                      // 000000002ED0: BEB800FF 00002000
	v_add_u32_e32 v18, s56, v19                                // 000000002ED8: 68242638
	s_mov_b32 s57, 0x9000                                      // 000000002EDC: BEB900FF 00009000
	v_add_u32_e32 v19, s57, v18                                // 000000002EE4: 68262439
	v_add_u32_e32 v20, s57, v19                                // 000000002EE8: 68282639
	v_add_u32_e32 v21, s57, v20                                // 000000002EEC: 682A2839
	v_and_b32_e32 v28, 15, v0                                  // 000000002EF0: 2638008F
	v_lshrrev_b32_e32 v29, 2, v28                              // 000000002EF4: 203A3882
	v_and_b32_e32 v30, 16, v0                                  // 000000002EF8: 263C0090
	v_lshrrev_b32_e32 v30, 1, v30                              // 000000002EFC: 203C3C81
	v_add_u32_e32 v31, v30, v29                                // 000000002F00: 683E3B1E
	v_lshlrev_b32_e32 v31, 4, v31                              // 000000002F04: 243E3E84
	v_and_b32_e32 v29, 3, v0                                   // 000000002F08: 263A0083
	v_lshlrev_b32_e32 v30, 1, v29                              // 000000002F0C: 243C3A81
	v_add_u32_e32 v31, v31, v30                                // 000000002F10: 683E3D1F
	v_mov_b32_e32 v28, 0                                       // 000000002F14: 7E380280
	v_mov_b32_e32 v29, 8                                       // 000000002F18: 7E3A0288
	s_mov_b32 s57, 0xffff0000                                  // 000000002F1C: BEB900FF FFFF0000
	s_mov_b32 s56, 0xffff0000                                  // 000000002F24: BEB800FF FFFF0000
	v_cndmask_b32_e64 v50, v28, v29, s[56:57]                  // 000000002F2C: D1000032 00E23B1C
	v_cndmask_b32_e64 v51, v29, v28, s[56:57]                  // 000000002F34: D1000033 00E2391D
	v_add_u32_e32 v8, v31, v50                                 // 000000002F3C: 6810651F
	v_add_u32_e32 v9, v31, v51                                 // 000000002F40: 6812671F
	v_lshrrev_b32_e32 v28, 5, v0                               // 000000002F44: 20380085
	s_mov_b32 s57, 0x1200                                      // 000000002F48: BEB900FF 00001200
	v_mul_i32_i24_e32 v28, s57, v28                            // 000000002F50: 0C383839
	v_add_u32_e32 v8, v8, v28                                  // 000000002F54: 68103908
	v_add_u32_e32 v9, v9, v28                                  // 000000002F58: 68123909
	v_lshlrev_b32_e32 v8, 2, v8                                // 000000002F5C: 24101082
	v_lshlrev_b32_e32 v9, 2, v9                                // 000000002F60: 24121282
	s_mov_b32 s56, 0x2000                                      // 000000002F64: BEB800FF 00002000
	v_add_u32_e32 v8, s56, v8                                  // 000000002F6C: 68101038
	v_add_u32_e32 v9, s56, v9                                  // 000000002F70: 68121238
	s_mov_b32 s56, 0x9000                                      // 000000002F74: BEB800FF 00009000
	v_add_u32_e32 v10, s56, v8                                 // 000000002F7C: 68141038
	v_add_u32_e32 v11, s56, v9                                 // 000000002F80: 68161238
	v_add_u32_e32 v12, s56, v10                                // 000000002F84: 68181438
	v_add_u32_e32 v13, s56, v11                                // 000000002F88: 681A1638
	v_add_u32_e32 v14, s56, v12                                // 000000002F8C: 681C1838
	v_add_u32_e32 v15, s56, v13                                // 000000002F90: 681E1A38
	v_mul_u32_u24_e64 v32, v23, s68                            // 000000002F94: D1080020 00008917
	v_add_u32_e32 v32, v32, v1                                 // 000000002F9C: 68400320
	s_mov_b32 s56, 0x1d000                                     // 000000002FA0: BEB800FF 0001D000
	s_mul_i32 s57, s7, 0x2400                                  // 000000002FA8: 9239FF07 00002400
	s_add_u32 m0, s56, s57                                     // 000000002FB0: 807C3938
	buffer_load_dwordx4 v32, s[20:23], 0 offen lds             // 000000002FB4: E05D1000 80050020
	s_add_i32 m0, m0, 0x3c0                                    // 000000002FBC: 817CFF7C 000003C0
	buffer_load_dwordx4 v32, s[20:23], 0 offen offset:64 lds   // 000000002FC4: E05D1040 80050020
	s_add_i32 m0, m0, 0x3c0                                    // 000000002FCC: 817CFF7C 000003C0
	buffer_load_dwordx4 v32, s[20:23], 0 offen offset:128 lds  // 000000002FD4: E05D1080 80050020
	s_add_i32 m0, m0, 0x3c0                                    // 000000002FDC: 817CFF7C 000003C0
	buffer_load_dwordx4 v32, s[20:23], 0 offen offset:192 lds  // 000000002FE4: E05D10C0 80050020
	s_add_i32 m0, m0, 0x3c0                                    // 000000002FEC: 817CFF7C 000003C0
	buffer_load_dwordx4 v32, s[20:23], 0 offen offset:256 lds  // 000000002FF4: E05D1100 80050020
	s_add_i32 m0, m0, 0x3c0                                    // 000000002FFC: 817CFF7C 000003C0
	buffer_load_dwordx4 v32, s[20:23], 0 offen offset:320 lds  // 000000003004: E05D1140 80050020
	s_add_i32 m0, m0, 0x3c0                                    // 00000000300C: 817CFF7C 000003C0
	buffer_load_dwordx4 v32, s[20:23], 0 offen offset:384 lds  // 000000003014: E05D1180 80050020
	s_add_i32 m0, m0, 0x3c0                                    // 00000000301C: 817CFF7C 000003C0
	buffer_load_dwordx4 v32, s[20:23], 0 offen offset:448 lds  // 000000003024: E05D11C0 80050020
	s_add_i32 m0, m0, 0x3c0                                    // 00000000302C: 817CFF7C 000003C0
	buffer_load_dwordx4 v32, s[20:23], 0 offen offset:512 lds  // 000000003034: E05D1200 80050020
	s_add_i32 m0, m0, 0x3c0                                    // 00000000303C: 817CFF7C 000003C0
	buffer_load_dword v25, v26, s[24:27], 0 offen              // 000000003044: E0501000 8006191A
	v_add_u32_e32 v26, s73, v26                                // 00000000304C: 68343449
	s_waitcnt vmcnt(10)                                        // 000000003050: BF8C0F7A
	s_barrier                                                  // 000000003054: BF8A0000
	s_waitcnt lgkmcnt(0)                                       // 000000003058: BF8CC07F
	ds_read_b128 a[72:75], v20                                 // 00000000305C: DBFE0000 48000014
	ds_read_b128 a[76:79], v20 offset:1024                     // 000000003064: DBFE0400 4C000014
	ds_read_b128 a[80:83], v20 offset:2048                     // 00000000306C: DBFE0800 50000014
	ds_read_b128 a[84:87], v20 offset:3072                     // 000000003074: DBFE0C00 54000014
	ds_read_b128 a[88:91], v20 offset:4096                     // 00000000307C: DBFE1000 58000014
	ds_read_b128 a[92:95], v20 offset:5120                     // 000000003084: DBFE1400 5C000014
	ds_read_b128 a[96:99], v20 offset:6144                     // 00000000308C: DBFE1800 60000014
	ds_read_b128 a[100:103], v20 offset:7168                   // 000000003094: DBFE1C00 64000014
	ds_read_b128 a[104:107], v20 offset:8192                   // 00000000309C: DBFE2000 68000014
	ds_read_b128 a[108:111], v20 offset:9216                   // 0000000030A4: DBFE2400 6C000014
	ds_read_b128 a[112:115], v20 offset:10240                  // 0000000030AC: DBFE2800 70000014
	ds_read_b128 a[116:119], v20 offset:11264                  // 0000000030B4: DBFE2C00 74000014
	ds_read_b128 a[120:123], v20 offset:12288                  // 0000000030BC: DBFE3000 78000014
	ds_read_b128 a[124:127], v20 offset:13312                  // 0000000030C4: DBFE3400 7C000014
	ds_read_b128 a[128:131], v20 offset:14336                  // 0000000030CC: DBFE3800 80000014
	ds_read_b128 a[132:135], v20 offset:15360                  // 0000000030D4: DBFE3C00 84000014
	ds_read_b128 a[136:139], v20 offset:16384                  // 0000000030DC: DBFE4000 88000014
	ds_read_b128 a[140:143], v20 offset:17408                  // 0000000030E4: DBFE4400 8C000014
	s_cmp_lt_u32 s71, 1                                        // 0000000030EC: BF0A8147
	s_cbranch_scc1 label_86A8                                  // 0000000030F0: BF851EAD
	s_waitcnt lgkmcnt(4)                                       // 0000000030F4: BF8CC47F
	v_mfma_f32_16x16x32_bf16 v[34:37], a[72:75], a[0:3], 0     // 0000000030F8: D3B50022 1A020148
	v_mul_u32_u24_e64 v32, v24, s68                            // 000000003100: D1080020 00008918
	v_add_u32_e32 v32, v32, v1                                 // 000000003108: 68400320
	buffer_load_dword v22, v26, s[24:27], 0 offen              // 00000000310C: E0501000 8006161A
	v_mfma_f32_16x16x32_bf16 v[34:37], a[76:79], a[4:7], v[34:37]// 000000003114: D3B50022 1C8A094C
	s_mov_b32 s56, 0x2000                                      // 00000000311C: BEB800FF 00002000
	s_mul_i32 s57, s7, 0x2400                                  // 000000003124: 9239FF07 00002400
	s_add_u32 m0, s56, s57                                     // 00000000312C: 807C3938
	buffer_load_dwordx4 v32, s[20:23], 0 offen lds             // 000000003130: E05D1000 80050020
	s_add_i32 m0, m0, 0x3c0                                    // 000000003138: 817CFF7C 000003C0
	v_mfma_f32_16x16x32_bf16 v[34:37], a[80:83], a[8:11], v[34:37]// 000000003140: D3B50022 1C8A1150
	buffer_load_dwordx4 v32, s[20:23], 0 offen offset:64 lds   // 000000003148: E05D1040 80050020
	s_add_i32 m0, m0, 0x3c0                                    // 000000003150: 817CFF7C 000003C0
	v_mfma_f32_16x16x32_bf16 v[34:37], a[84:87], a[12:15], v[34:37]// 000000003158: D3B50022 1C8A1954
	buffer_load_dwordx4 v32, s[20:23], 0 offen offset:128 lds  // 000000003160: E05D1080 80050020
	s_add_i32 m0, m0, 0x3c0                                    // 000000003168: 817CFF7C 000003C0
	v_mfma_f32_16x16x32_bf16 v[34:37], a[88:91], a[16:19], v[34:37]// 000000003170: D3B50022 1C8A2158
	buffer_load_dwordx4 v32, s[20:23], 0 offen offset:192 lds  // 000000003178: E05D10C0 80050020
	s_add_i32 m0, m0, 0x3c0                                    // 000000003180: 817CFF7C 000003C0
	v_mfma_f32_16x16x32_bf16 v[34:37], a[92:95], a[20:23], v[34:37]// 000000003188: D3B50022 1C8A295C
	buffer_load_dwordx4 v32, s[20:23], 0 offen offset:256 lds  // 000000003190: E05D1100 80050020
	s_add_i32 m0, m0, 0x3c0                                    // 000000003198: 817CFF7C 000003C0
	v_mfma_f32_16x16x32_bf16 v[34:37], a[96:99], a[24:27], v[34:37]// 0000000031A0: D3B50022 1C8A3160
	buffer_load_dwordx4 v32, s[20:23], 0 offen offset:320 lds  // 0000000031A8: E05D1140 80050020
	s_add_i32 m0, m0, 0x3c0                                    // 0000000031B0: 817CFF7C 000003C0
	v_mfma_f32_16x16x32_bf16 v[34:37], a[100:103], a[28:31], v[34:37]// 0000000031B8: D3B50022 1C8A3964
	buffer_load_dwordx4 v32, s[20:23], 0 offen offset:384 lds  // 0000000031C0: E05D1180 80050020
	s_add_i32 m0, m0, 0x3c0                                    // 0000000031C8: 817CFF7C 000003C0
	v_mfma_f32_16x16x32_bf16 v[34:37], a[104:107], a[32:35], v[34:37]// 0000000031D0: D3B50022 1C8A4168
	buffer_load_dwordx4 v32, s[20:23], 0 offen offset:448 lds  // 0000000031D8: E05D11C0 80050020
	s_add_i32 m0, m0, 0x3c0                                    // 0000000031E0: 817CFF7C 000003C0
	v_mfma_f32_16x16x32_bf16 v[34:37], a[108:111], a[36:39], v[34:37]// 0000000031E8: D3B50022 1C8A496C
	buffer_load_dwordx4 v32, s[20:23], 0 offen offset:512 lds  // 0000000031F0: E05D1200 80050020
	s_add_i32 m0, m0, 0x3c0                                    // 0000000031F8: 817CFF7C 000003C0
	v_mfma_f32_16x16x32_bf16 v[34:37], a[112:115], a[40:43], v[34:37]// 000000003200: D3B50022 1C8A5170
	ds_read_b128 a[72:75], v20 offset:18432                    // 000000003208: DBFE4800 48000014
	ds_read_b128 a[76:79], v20 offset:19456                    // 000000003210: DBFE4C00 4C000014
	v_mfma_f32_16x16x32_bf16 v[34:37], a[116:119], a[44:47], v[34:37]// 000000003218: D3B50022 1C8A5974
	ds_read_b128 a[80:83], v20 offset:20480                    // 000000003220: DBFE5000 50000014
	ds_read_b128 a[84:87], v20 offset:21504                    // 000000003228: DBFE5400 54000014
	v_mfma_f32_16x16x32_bf16 v[34:37], a[120:123], a[48:51], v[34:37]// 000000003230: D3B50022 1C8A6178
	ds_read_b128 a[88:91], v20 offset:22528                    // 000000003238: DBFE5800 58000014
	ds_read_b128 a[92:95], v20 offset:23552                    // 000000003240: DBFE5C00 5C000014
	v_mfma_f32_16x16x32_bf16 v[34:37], a[124:127], a[52:55], v[34:37]// 000000003248: D3B50022 1C8A697C
	ds_read_b128 a[96:99], v20 offset:24576                    // 000000003250: DBFE6000 60000014
	ds_read_b128 a[100:103], v20 offset:25600                  // 000000003258: DBFE6400 64000014
	v_mfma_f32_16x16x32_bf16 v[34:37], a[128:131], a[56:59], v[34:37]// 000000003260: D3B50022 1C8A7180
	ds_read_b128 a[104:107], v20 offset:26624                  // 000000003268: DBFE6800 68000014
	ds_read_b128 a[108:111], v20 offset:27648                  // 000000003270: DBFE6C00 6C000014
	v_mfma_f32_16x16x32_bf16 v[34:37], a[132:135], a[60:63], v[34:37]// 000000003278: D3B50022 1C8A7984
	ds_read_b128 a[112:115], v20 offset:28672                  // 000000003280: DBFE7000 70000014
	ds_read_b128 a[116:119], v20 offset:29696                  // 000000003288: DBFE7400 74000014
	v_mfma_f32_16x16x32_bf16 v[34:37], a[136:139], a[64:67], v[34:37]// 000000003290: D3B50022 1C8A8188
	ds_read_b128 a[120:123], v20 offset:30720                  // 000000003298: DBFE7800 78000014
	ds_read_b128 a[124:127], v20 offset:31744                  // 0000000032A0: DBFE7C00 7C000014
	v_mfma_f32_16x16x32_bf16 v[34:37], a[140:143], a[68:71], v[34:37]// 0000000032A8: D3B50022 1C8A898C
	ds_read_b128 a[128:131], v20 offset:32768                  // 0000000032B0: DBFE8000 80000014
	ds_read_b128 a[132:135], v20 offset:33792                  // 0000000032B8: DBFE8400 84000014
	ds_read_b128 a[136:139], v20 offset:34816                  // 0000000032C0: DBFE8800 88000014
	ds_read_b128 a[140:143], v20 offset:35840                  // 0000000032C8: DBFE8C00 8C000014
	v_add_u32_e32 v26, s73, v26                                // 0000000032D0: 68343449
	s_waitcnt lgkmcnt(4)                                       // 0000000032D4: BF8CC47F
	v_mfma_f32_16x16x32_bf16 v[38:41], a[72:75], a[0:3], 0     // 0000000032D8: D3B50026 1A020148
	v_mfma_f32_16x16x32_bf16 v[38:41], a[76:79], a[4:7], v[38:41]// 0000000032E0: D3B50026 1C9A094C
	v_mfma_f32_16x16x32_bf16 v[38:41], a[80:83], a[8:11], v[38:41]// 0000000032E8: D3B50026 1C9A1150
	v_mfma_f32_16x16x32_bf16 v[38:41], a[84:87], a[12:15], v[38:41]// 0000000032F0: D3B50026 1C9A1954
	v_mfma_f32_16x16x32_bf16 v[38:41], a[88:91], a[16:19], v[38:41]// 0000000032F8: D3B50026 1C9A2158
	v_mfma_f32_16x16x32_bf16 v[38:41], a[92:95], a[20:23], v[38:41]// 000000003300: D3B50026 1C9A295C
	s_waitcnt vmcnt(10)                                        // 000000003308: BF8C0F7A
	s_barrier                                                  // 00000000330C: BF8A0000
	v_mfma_f32_16x16x32_bf16 v[38:41], a[96:99], a[24:27], v[38:41]// 000000003310: D3B50026 1C9A3160
	v_mfma_f32_16x16x32_bf16 v[38:41], a[100:103], a[28:31], v[38:41]// 000000003318: D3B50026 1C9A3964
	ds_read_b128 a[72:75], v21                                 // 000000003320: DBFE0000 48000015
	v_mfma_f32_16x16x32_bf16 v[38:41], a[104:107], a[32:35], v[38:41]// 000000003328: D3B50026 1C9A4168
	v_mfma_f32_16x16x32_bf16 v[38:41], a[108:111], a[36:39], v[38:41]// 000000003330: D3B50026 1C9A496C
	ds_read_b128 a[76:79], v21 offset:1024                     // 000000003338: DBFE0400 4C000015
	v_mfma_f32_16x16x32_bf16 v[38:41], a[112:115], a[40:43], v[38:41]// 000000003340: D3B50026 1C9A5170
	v_mfma_f32_16x16x32_bf16 v[38:41], a[116:119], a[44:47], v[38:41]// 000000003348: D3B50026 1C9A5974
	ds_read_b128 a[80:83], v21 offset:2048                     // 000000003350: DBFE0800 50000015
	v_mfma_f32_16x16x32_bf16 v[38:41], a[120:123], a[48:51], v[38:41]// 000000003358: D3B50026 1C9A6178
	v_mfma_f32_16x16x32_bf16 v[38:41], a[124:127], a[52:55], v[38:41]// 000000003360: D3B50026 1C9A697C
	ds_read_b128 a[84:87], v21 offset:3072                     // 000000003368: DBFE0C00 54000015
	v_mfma_f32_16x16x32_bf16 v[38:41], a[128:131], a[56:59], v[38:41]// 000000003370: D3B50026 1C9A7180
	v_mfma_f32_16x16x32_bf16 v[38:41], a[132:135], a[60:63], v[38:41]// 000000003378: D3B50026 1C9A7984
	ds_read_b128 a[88:91], v21 offset:4096                     // 000000003380: DBFE1000 58000015
	v_mfma_f32_16x16x32_bf16 v[38:41], a[136:139], a[64:67], v[38:41]// 000000003388: D3B50026 1C9A8188
	v_mfma_f32_16x16x32_bf16 v[38:41], a[140:143], a[68:71], v[38:41]// 000000003390: D3B50026 1C9A898C
	ds_read_b128 a[92:95], v21 offset:5120                     // 000000003398: DBFE1400 5C000015
	ds_read_b128 a[96:99], v21 offset:6144                     // 0000000033A0: DBFE1800 60000015
	ds_read_b128 a[100:103], v21 offset:7168                   // 0000000033A8: DBFE1C00 64000015
	ds_read_b128 a[104:107], v21 offset:8192                   // 0000000033B0: DBFE2000 68000015
	ds_read_b128 a[108:111], v21 offset:9216                   // 0000000033B8: DBFE2400 6C000015
	ds_read_b128 a[112:115], v21 offset:10240                  // 0000000033C0: DBFE2800 70000015
	ds_read_b128 a[116:119], v21 offset:11264                  // 0000000033C8: DBFE2C00 74000015
	ds_read_b128 a[120:123], v21 offset:12288                  // 0000000033D0: DBFE3000 78000015
	ds_read_b128 a[124:127], v21 offset:13312                  // 0000000033D8: DBFE3400 7C000015
	ds_read_b128 a[128:131], v21 offset:14336                  // 0000000033E0: DBFE3800 80000015
	ds_read_b128 a[132:135], v21 offset:15360                  // 0000000033E8: DBFE3C00 84000015
	ds_read_b128 a[136:139], v21 offset:16384                  // 0000000033F0: DBFE4000 88000015
	ds_read_b128 a[140:143], v21 offset:17408                  // 0000000033F8: DBFE4400 8C000015
	s_nop 2                                                    // 000000003400: BF800002
	v_mov_b32_e32 v29, v34                                     // 000000003404: 7E3A0322
	v_max3_f32 v29, v34, v35, v29                              // 000000003408: D1D3001D 04764722
	v_max3_f32 v29, v36, v37, v29                              // 000000003410: D1D3001D 04764B24
	v_max3_f32 v29, v38, v39, v29                              // 000000003418: D1D3001D 04764F26
	v_max3_f32 v29, v40, v41, v29                              // 000000003420: D1D3001D 04765328
	v_mov_b32_e32 v28, v29                                     // 000000003428: 7E38031D
	v_mov_b32_e32 v29, v29                                     // 00000000342C: 7E3A031D
	s_nop 1                                                    // 000000003430: BF800001
	v_permlane16_swap_b32_e32 v28, v29                         // 000000003434: 7E38B31D
	v_mov_b32_e32 v31, v28                                     // 000000003438: 7E3E031C
	v_mov_b32_e32 v30, v29                                     // 00000000343C: 7E3C031D
	s_nop 1                                                    // 000000003440: BF800001
	v_permlane32_swap_b32_e32 v28, v29                         // 000000003444: 7E38B51D
	v_permlane32_swap_b32_e32 v30, v31                         // 000000003448: 7E3CB51F
	v_max3_f32 v29, v28, v29, v29                              // 00000000344C: D1D3001D 04763B1C
	v_max3_f32 v29, v30, v31, v29                              // 000000003454: D1D3001D 04763F1E
	v_mov_b32_e32 v28, 0xff800000                              // 00000000345C: 7E3802FF FF800000
	v_cmp_eq_u32_e64 s[36:37], v28, v2                         // 000000003464: D0CA0024 0002051C
	v_max_f32_e32 v29, v29, v2                                 // 00000000346C: 163A051D
	v_sub_f32_e32 v16, v2, v29                                 // 000000003470: 04203B02
	v_cndmask_b32_e64 v16, v16, 0, s[36:37]                    // 000000003474: D1000010 00910110
	v_mov_b32_e32 v2, v29                                      // 00000000347C: 7E04031D
	v_mul_f32_e32 v29, s5, v29                                 // 000000003480: 0A3A3A05
	v_mul_f32_e32 v16, s5, v16                                 // 000000003484: 0A202005
	v_exp_f32_e32 v16, v16                                     // 000000003488: 7E204110
	v_fma_f32 v34, v34, s5, -v29                               // 00000000348C: D1CB0022 84740B22
	v_fma_f32 v35, v35, s5, -v29                               // 000000003494: D1CB0023 84740B23
	v_fma_f32 v36, v36, s5, -v29                               // 00000000349C: D1CB0024 84740B24
	v_fma_f32 v37, v37, s5, -v29                               // 0000000034A4: D1CB0025 84740B25
	v_fma_f32 v38, v38, s5, -v29                               // 0000000034AC: D1CB0026 84740B26
	v_fma_f32 v39, v39, s5, -v29                               // 0000000034B4: D1CB0027 84740B27
	v_fma_f32 v40, v40, s5, -v29                               // 0000000034BC: D1CB0028 84740B28
	v_fma_f32 v41, v41, s5, -v29                               // 0000000034C4: D1CB0029 84740B29
	v_exp_f32_e32 v34, v34                                     // 0000000034CC: 7E444122
	v_exp_f32_e32 v35, v35                                     // 0000000034D0: 7E464123
	v_exp_f32_e32 v36, v36                                     // 0000000034D4: 7E484124
	v_exp_f32_e32 v37, v37                                     // 0000000034D8: 7E4A4125
	v_exp_f32_e32 v38, v38                                     // 0000000034DC: 7E4C4126
	v_exp_f32_e32 v39, v39                                     // 0000000034E0: 7E4E4127
	v_exp_f32_e32 v40, v40                                     // 0000000034E4: 7E504128
	v_exp_f32_e32 v41, v41                                     // 0000000034E8: 7E524129
	v_mul_f32_e32 v4, v16, v4                                  // 0000000034EC: 0A080910
	v_mov_b32_e32 v28, v34                                     // 0000000034F0: 7E380322
	v_add_f32_e32 v28, v35, v28                                // 0000000034F4: 02383923
	v_add_f32_e32 v28, v36, v28                                // 0000000034F8: 02383924
	v_add_f32_e32 v28, v37, v28                                // 0000000034FC: 02383925
	v_add_f32_e32 v28, v38, v28                                // 000000003500: 02383926
	v_add_f32_e32 v28, v39, v28                                // 000000003504: 02383927
	;; [unrolled: 1-line block ×3, first 2 shown]
	v_add_f32_e32 v28, v41, v28                                // 00000000350C: 02383929
	v_add_f32_e32 v4, v28, v4                                  // 000000003510: 0208091C
	v_cvt_pk_bf16_f32 v34, v34, v35                            // 000000003514: D2680022 00024722
	v_cvt_pk_bf16_f32 v35, v36, v37                            // 00000000351C: D2680023 00024B24
	v_cvt_pk_bf16_f32 v36, v38, v39                            // 000000003524: D2680024 00024F26
	v_cvt_pk_bf16_f32 v37, v40, v41                            // 00000000352C: D2680025 00025328
	s_nop 0                                                    // 000000003534: BF800000
	v_permlane32_swap_b32_e32 v34, v36                         // 000000003538: 7E44B524
	v_permlane32_swap_b32_e32 v35, v37                         // 00000000353C: 7E46B525
	s_nop 0                                                    // 000000003540: BF800000
	v_permlane16_swap_b32_e32 v34, v36                         // 000000003544: 7E44B324
	v_permlane16_swap_b32_e32 v35, v37                         // 000000003548: 7E46B325
	s_addk_i32 s70, 0x1                                        // 00000000354C: B7460001
	s_cmp_eq_u32 s71, s70                                      // 000000003550: BF064647
	s_cbranch_scc1 label_5F74                                  // 000000003554: BF8513C7
	s_waitcnt lgkmcnt(4)                                       // 000000003558: BF8CC47F
	v_mfma_f32_16x16x32_bf16 v[42:45], a[72:75], a[0:3], 0     // 00000000355C: D3B5002A 1A020148
	v_mul_u32_u24_e64 v32, v25, s68                            // 000000003564: D1080020 00008919
	v_add_u32_e32 v32, v32, v1                                 // 00000000356C: 68400320
	buffer_load_dword v23, v26, s[24:27], 0 offen              // 000000003570: E0501000 8006171A
	v_mfma_f32_16x16x32_bf16 v[42:45], a[76:79], a[4:7], v[42:45]// 000000003578: D3B5002A 1CAA094C
	s_mov_b32 s56, 0xb000                                      // 000000003580: BEB800FF 0000B000
	s_mul_i32 s57, s7, 0x2400                                  // 000000003588: 9239FF07 00002400
	s_add_u32 m0, s56, s57                                     // 000000003590: 807C3938
	buffer_load_dwordx4 v32, s[20:23], 0 offen lds             // 000000003594: E05D1000 80050020
	s_add_i32 m0, m0, 0x3c0                                    // 00000000359C: 817CFF7C 000003C0
	v_mfma_f32_16x16x32_bf16 v[42:45], a[80:83], a[8:11], v[42:45]// 0000000035A4: D3B5002A 1CAA1150
	v_mfma_f32_16x16x32_bf16 v[42:45], a[84:87], a[12:15], v[42:45]// 0000000035AC: D3B5002A 1CAA1954
	buffer_load_dwordx4 v32, s[20:23], 0 offen offset:64 lds   // 0000000035B4: E05D1040 80050020
	s_add_i32 m0, m0, 0x3c0                                    // 0000000035BC: 817CFF7C 000003C0
	v_mfma_f32_16x16x32_bf16 v[42:45], a[88:91], a[16:19], v[42:45]// 0000000035C4: D3B5002A 1CAA2158
	ds_read_b128 a[72:75], v21 offset:18432                    // 0000000035CC: DBFE4800 48000015
	v_mfma_f32_16x16x32_bf16 v[42:45], a[92:95], a[20:23], v[42:45]// 0000000035D4: D3B5002A 1CAA295C
	buffer_load_dwordx4 v32, s[20:23], 0 offen offset:128 lds  // 0000000035DC: E05D1080 80050020
	s_add_i32 m0, m0, 0x3c0                                    // 0000000035E4: 817CFF7C 000003C0
	v_mfma_f32_16x16x32_bf16 v[42:45], a[96:99], a[24:27], v[42:45]// 0000000035EC: D3B5002A 1CAA3160
	ds_read_b128 a[76:79], v21 offset:19456                    // 0000000035F4: DBFE4C00 4C000015
	v_mfma_f32_16x16x32_bf16 v[42:45], a[100:103], a[28:31], v[42:45]// 0000000035FC: D3B5002A 1CAA3964
	buffer_load_dwordx4 v32, s[20:23], 0 offen offset:192 lds  // 000000003604: E05D10C0 80050020
	s_add_i32 m0, m0, 0x3c0                                    // 00000000360C: 817CFF7C 000003C0
	v_mfma_f32_16x16x32_bf16 v[42:45], a[104:107], a[32:35], v[42:45]// 000000003614: D3B5002A 1CAA4168
	ds_read_b128 a[80:83], v21 offset:20480                    // 00000000361C: DBFE5000 50000015
	v_mfma_f32_16x16x32_bf16 v[42:45], a[108:111], a[36:39], v[42:45]// 000000003624: D3B5002A 1CAA496C
	buffer_load_dwordx4 v32, s[20:23], 0 offen offset:256 lds  // 00000000362C: E05D1100 80050020
	s_add_i32 m0, m0, 0x3c0                                    // 000000003634: 817CFF7C 000003C0
	v_mfma_f32_16x16x32_bf16 v[42:45], a[112:115], a[40:43], v[42:45]// 00000000363C: D3B5002A 1CAA5170
	ds_read_b128 a[84:87], v21 offset:21504                    // 000000003644: DBFE5400 54000015
	v_mfma_f32_16x16x32_bf16 v[42:45], a[116:119], a[44:47], v[42:45]// 00000000364C: D3B5002A 1CAA5974
	buffer_load_dwordx4 v32, s[20:23], 0 offen offset:320 lds  // 000000003654: E05D1140 80050020
	s_add_i32 m0, m0, 0x3c0                                    // 00000000365C: 817CFF7C 000003C0
	v_mfma_f32_16x16x32_bf16 v[42:45], a[120:123], a[48:51], v[42:45]// 000000003664: D3B5002A 1CAA6178
	ds_read_b128 a[88:91], v21 offset:22528                    // 00000000366C: DBFE5800 58000015
	v_mfma_f32_16x16x32_bf16 v[42:45], a[124:127], a[52:55], v[42:45]// 000000003674: D3B5002A 1CAA697C
	buffer_load_dwordx4 v32, s[20:23], 0 offen offset:384 lds  // 00000000367C: E05D1180 80050020
	s_add_i32 m0, m0, 0x3c0                                    // 000000003684: 817CFF7C 000003C0
	v_mfma_f32_16x16x32_bf16 v[42:45], a[128:131], a[56:59], v[42:45]// 00000000368C: D3B5002A 1CAA7180
	ds_read_b128 a[92:95], v21 offset:23552                    // 000000003694: DBFE5C00 5C000015
	v_mfma_f32_16x16x32_bf16 v[42:45], a[132:135], a[60:63], v[42:45]// 00000000369C: D3B5002A 1CAA7984
	buffer_load_dwordx4 v32, s[20:23], 0 offen offset:448 lds  // 0000000036A4: E05D11C0 80050020
	s_add_i32 m0, m0, 0x3c0                                    // 0000000036AC: 817CFF7C 000003C0
	v_mfma_f32_16x16x32_bf16 v[42:45], a[136:139], a[64:67], v[42:45]// 0000000036B4: D3B5002A 1CAA8188
	ds_read_b128 a[96:99], v21 offset:24576                    // 0000000036BC: DBFE6000 60000015
	v_mfma_f32_16x16x32_bf16 v[42:45], a[140:143], a[68:71], v[42:45]// 0000000036C4: D3B5002A 1CAA898C
	buffer_load_dwordx4 v32, s[20:23], 0 offen offset:512 lds  // 0000000036CC: E05D1200 80050020
	s_add_i32 m0, m0, 0x3c0                                    // 0000000036D4: 817CFF7C 000003C0
	ds_read_b128 a[100:103], v21 offset:25600                  // 0000000036DC: DBFE6400 64000015
	ds_read_b128 a[104:107], v21 offset:26624                  // 0000000036E4: DBFE6800 68000015
	ds_read_b128 a[108:111], v21 offset:27648                  // 0000000036EC: DBFE6C00 6C000015
	ds_read_b128 a[112:115], v21 offset:28672                  // 0000000036F4: DBFE7000 70000015
	ds_read_b128 a[116:119], v21 offset:29696                  // 0000000036FC: DBFE7400 74000015
	ds_read_b128 a[120:123], v21 offset:30720                  // 000000003704: DBFE7800 78000015
	ds_read_b128 a[124:127], v21 offset:31744                  // 00000000370C: DBFE7C00 7C000015
	ds_read_b128 a[128:131], v21 offset:32768                  // 000000003714: DBFE8000 80000015
	ds_read_b128 a[132:135], v21 offset:33792                  // 00000000371C: DBFE8400 84000015
	ds_read_b128 a[136:139], v21 offset:34816                  // 000000003724: DBFE8800 88000015
	ds_read_b128 a[140:143], v21 offset:35840                  // 00000000372C: DBFE8C00 8C000015
	v_add_u32_e32 v26, s73, v26                                // 000000003734: 68343449
	s_waitcnt lgkmcnt(4)                                       // 000000003738: BF8CC47F
	v_mfma_f32_16x16x32_bf16 v[46:49], a[72:75], a[0:3], 0     // 00000000373C: D3B5002E 1A020148
	ds_read_b64_tr_b16 a[144:145], v12                         // 000000003744: DBC60000 9000000C
	ds_read_b64_tr_b16 a[146:147], v12 offset:256              // 00000000374C: DBC60100 9200000C
	ds_read_b64_tr_b16 a[148:149], v13                         // 000000003754: DBC60000 9400000D
	ds_read_b64_tr_b16 a[150:151], v13 offset:256              // 00000000375C: DBC60100 9600000D
	v_mfma_f32_16x16x32_bf16 v[46:49], a[76:79], a[4:7], v[46:49]// 000000003764: D3B5002E 1CBA094C
	v_mfma_f32_16x16x32_bf16 v[46:49], a[80:83], a[8:11], v[46:49]// 00000000376C: D3B5002E 1CBA1150
	ds_read_b64_tr_b16 a[152:153], v12 offset:1024             // 000000003774: DBC60400 9800000C
	ds_read_b64_tr_b16 a[154:155], v12 offset:1280             // 00000000377C: DBC60500 9A00000C
	ds_read_b64_tr_b16 a[156:157], v13 offset:1024             // 000000003784: DBC60400 9C00000D
	ds_read_b64_tr_b16 a[158:159], v13 offset:1280             // 00000000378C: DBC60500 9E00000D
	v_mfma_f32_16x16x32_bf16 v[46:49], a[84:87], a[12:15], v[46:49]// 000000003794: D3B5002E 1CBA1954
	v_mfma_f32_16x16x32_bf16 v[46:49], a[88:91], a[16:19], v[46:49]// 00000000379C: D3B5002E 1CBA2158
	ds_read_b64_tr_b16 a[160:161], v12 offset:2048             // 0000000037A4: DBC60800 A000000C
	ds_read_b64_tr_b16 a[162:163], v12 offset:2304             // 0000000037AC: DBC60900 A200000C
	ds_read_b64_tr_b16 a[164:165], v13 offset:2048             // 0000000037B4: DBC60800 A400000D
	ds_read_b64_tr_b16 a[166:167], v13 offset:2304             // 0000000037BC: DBC60900 A600000D
	v_mfma_f32_16x16x32_bf16 v[46:49], a[92:95], a[20:23], v[46:49]// 0000000037C4: D3B5002E 1CBA295C
	v_mfma_f32_16x16x32_bf16 v[46:49], a[96:99], a[24:27], v[46:49]// 0000000037CC: D3B5002E 1CBA3160
	ds_read_b64_tr_b16 a[168:169], v12 offset:3072             // 0000000037D4: DBC60C00 A800000C
	ds_read_b64_tr_b16 a[170:171], v12 offset:3328             // 0000000037DC: DBC60D00 AA00000C
	ds_read_b64_tr_b16 a[172:173], v13 offset:3072             // 0000000037E4: DBC60C00 AC00000D
	ds_read_b64_tr_b16 a[174:175], v13 offset:3328             // 0000000037EC: DBC60D00 AE00000D
	v_mfma_f32_16x16x32_bf16 v[46:49], a[100:103], a[28:31], v[46:49]// 0000000037F4: D3B5002E 1CBA3964
	v_mfma_f32_16x16x32_bf16 v[46:49], a[104:107], a[32:35], v[46:49]// 0000000037FC: D3B5002E 1CBA4168
	ds_read_b64_tr_b16 a[176:177], v12 offset:4096             // 000000003804: DBC61000 B000000C
	ds_read_b64_tr_b16 a[178:179], v12 offset:4352             // 00000000380C: DBC61100 B200000C
	ds_read_b64_tr_b16 a[180:181], v13 offset:4096             // 000000003814: DBC61000 B400000D
	ds_read_b64_tr_b16 a[182:183], v13 offset:4352             // 00000000381C: DBC61100 B600000D
	v_mfma_f32_16x16x32_bf16 v[46:49], a[108:111], a[36:39], v[46:49]// 000000003824: D3B5002E 1CBA496C
	v_mfma_f32_16x16x32_bf16 v[46:49], a[112:115], a[40:43], v[46:49]// 00000000382C: D3B5002E 1CBA5170
	ds_read_b64_tr_b16 a[184:185], v12 offset:5120             // 000000003834: DBC61400 B800000C
	ds_read_b64_tr_b16 a[186:187], v12 offset:5376             // 00000000383C: DBC61500 BA00000C
	ds_read_b64_tr_b16 a[188:189], v13 offset:5120             // 000000003844: DBC61400 BC00000D
	ds_read_b64_tr_b16 a[190:191], v13 offset:5376             // 00000000384C: DBC61500 BE00000D
	v_mfma_f32_16x16x32_bf16 v[46:49], a[116:119], a[44:47], v[46:49]// 000000003854: D3B5002E 1CBA5974
	v_mfma_f32_16x16x32_bf16 v[46:49], a[120:123], a[48:51], v[46:49]// 00000000385C: D3B5002E 1CBA6178
	ds_read_b64_tr_b16 a[192:193], v12 offset:6144             // 000000003864: DBC61800 C000000C
	ds_read_b64_tr_b16 a[194:195], v12 offset:6400             // 00000000386C: DBC61900 C200000C
	ds_read_b64_tr_b16 a[196:197], v13 offset:6144             // 000000003874: DBC61800 C400000D
	ds_read_b64_tr_b16 a[198:199], v13 offset:6400             // 00000000387C: DBC61900 C600000D
	v_mfma_f32_16x16x32_bf16 v[46:49], a[124:127], a[52:55], v[46:49]// 000000003884: D3B5002E 1CBA697C
	v_mfma_f32_16x16x32_bf16 v[46:49], a[128:131], a[56:59], v[46:49]// 00000000388C: D3B5002E 1CBA7180
	ds_read_b64_tr_b16 a[200:201], v12 offset:7168             // 000000003894: DBC61C00 C800000C
	ds_read_b64_tr_b16 a[202:203], v12 offset:7424             // 00000000389C: DBC61D00 CA00000C
	ds_read_b64_tr_b16 a[204:205], v13 offset:7168             // 0000000038A4: DBC61C00 CC00000D
	ds_read_b64_tr_b16 a[206:207], v13 offset:7424             // 0000000038AC: DBC61D00 CE00000D
	v_mfma_f32_16x16x32_bf16 v[46:49], a[132:135], a[60:63], v[46:49]// 0000000038B4: D3B5002E 1CBA7984
	v_mfma_f32_16x16x32_bf16 v[46:49], a[136:139], a[64:67], v[46:49]// 0000000038BC: D3B5002E 1CBA8188
	v_mfma_f32_16x16x32_bf16 v[46:49], a[140:143], a[68:71], v[46:49]// 0000000038C4: D3B5002E 1CBA898C
	s_addk_i32 s70, 0x1                                        // 0000000038CC: B7460001
	s_cmp_eq_u32 s71, s70                                      // 0000000038D0: BF064647
	s_cbranch_scc1 label_627C                                  // 0000000038D4: BF8513A9
	s_cmp_lt_i32 s7, 2                                         // 0000000038D8: BF048207
	s_cbranch_scc0 label_39B0                                  // 0000000038DC: BF840974

00000000000038e0 <label_13E0>:
	s_waitcnt lgkmcnt(0)                                       // 0000000038E0: BF8CC07F
	v_mul_u32_u24_e64 v32, v22, s68                            // 0000000038E4: D1080020 00008916
	v_add_u32_e32 v32, v32, v1                                 // 0000000038EC: 68400320
	v_mfma_f32_16x16x32_bf16 v[50:53], a[144:147], v[34:37], v[50:53]// 0000000038F0: D3B50032 0CCA4590
	v_mov_b32_e32 v29, v42                                     // 0000000038F8: 7E3A032A
	v_max3_f32 v29, v42, v43, v29                              // 0000000038FC: D1D3001D 0476572A
	v_mfma_f32_16x16x32_bf16 v[54:57], a[148:151], v[34:37], v[54:57]// 000000003904: D3B50036 0CDA4594
	ds_read_b64_tr_b16 a[144:145], v12 offset:8192             // 00000000390C: DBC62000 9000000C
	ds_read_b64_tr_b16 a[146:147], v12 offset:8448             // 000000003914: DBC62100 9200000C
	v_mfma_f32_16x16x32_bf16 v[58:61], a[152:155], v[34:37], v[58:61]// 00000000391C: D3B5003A 0CEA4598
	v_max3_f32 v29, v44, v45, v29                              // 000000003924: D1D3001D 04765B2C
	v_max3_f32 v29, v46, v47, v29                              // 00000000392C: D1D3001D 04765F2E
	v_mfma_f32_16x16x32_bf16 v[62:65], a[156:159], v[34:37], v[62:65]// 000000003934: D3B5003E 0CFA459C
	ds_read_b64_tr_b16 a[148:149], v13 offset:8192             // 00000000393C: DBC62000 9400000D
	ds_read_b64_tr_b16 a[150:151], v13 offset:8448             // 000000003944: DBC62100 9600000D
	v_mfma_f32_16x16x32_bf16 v[66:69], a[160:163], v[34:37], v[66:69]// 00000000394C: D3B50042 0D0A45A0
	v_max3_f32 v29, v48, v49, v29                              // 000000003954: D1D3001D 04766330
	v_mov_b32_e32 v28, v29                                     // 00000000395C: 7E38031D
	v_mfma_f32_16x16x32_bf16 v[70:73], a[164:167], v[34:37], v[70:73]// 000000003960: D3B50046 0D1A45A4
	ds_read_b64_tr_b16 a[152:153], v12 offset:9216             // 000000003968: DBC62400 9800000C
	ds_read_b64_tr_b16 a[154:155], v12 offset:9472             // 000000003970: DBC62500 9A00000C
	v_mfma_f32_16x16x32_bf16 v[74:77], a[168:171], v[34:37], v[74:77]// 000000003978: D3B5004A 0D2A45A8
	v_mov_b32_e32 v29, v29                                     // 000000003980: 7E3A031D
	s_nop 1                                                    // 000000003984: BF800001
	v_mfma_f32_16x16x32_bf16 v[78:81], a[172:175], v[34:37], v[78:81]// 000000003988: D3B5004E 0D3A45AC
	ds_read_b64_tr_b16 a[156:157], v13 offset:9216             // 000000003990: DBC62400 9C00000D
	ds_read_b64_tr_b16 a[158:159], v13 offset:9472             // 000000003998: DBC62500 9E00000D
	v_mfma_f32_16x16x32_bf16 v[82:85], a[176:179], v[34:37], v[82:85]// 0000000039A0: D3B50052 0D4A45B0
	v_permlane16_swap_b32_e32 v28, v29                         // 0000000039A8: 7E38B31D
	v_mfma_f32_16x16x32_bf16 v[86:89], a[180:183], v[34:37], v[86:89]// 0000000039AC: D3B50056 0D5A45B4
	ds_read_b64_tr_b16 a[160:161], v12 offset:10240            // 0000000039B4: DBC62800 A000000C
	ds_read_b64_tr_b16 a[162:163], v12 offset:10496            // 0000000039BC: DBC62900 A200000C
	v_mfma_f32_16x16x32_bf16 v[90:93], a[184:187], v[34:37], v[90:93]// 0000000039C4: D3B5005A 0D6A45B8
	v_mov_b32_e32 v31, v28                                     // 0000000039CC: 7E3E031C
	v_mov_b32_e32 v30, v29                                     // 0000000039D0: 7E3C031D
	v_mfma_f32_16x16x32_bf16 v[94:97], a[188:191], v[34:37], v[94:97]// 0000000039D4: D3B5005E 0D7A45BC
	ds_read_b64_tr_b16 a[164:165], v13 offset:10240            // 0000000039DC: DBC62800 A400000D
	ds_read_b64_tr_b16 a[166:167], v13 offset:10496            // 0000000039E4: DBC62900 A600000D
	v_mfma_f32_16x16x32_bf16 v[98:101], a[192:195], v[34:37], v[98:101]// 0000000039EC: D3B50062 0D8A45C0
	s_nop 1                                                    // 0000000039F4: BF800001
	v_permlane32_swap_b32_e32 v28, v29                         // 0000000039F8: 7E38B51D
	v_mfma_f32_16x16x32_bf16 v[102:105], a[196:199], v[34:37], v[102:105]// 0000000039FC: D3B50066 0D9A45C4
	ds_read_b64_tr_b16 a[168:169], v12 offset:11264            // 000000003A04: DBC62C00 A800000C
	ds_read_b64_tr_b16 a[170:171], v12 offset:11520            // 000000003A0C: DBC62D00 AA00000C
	v_mfma_f32_16x16x32_bf16 v[106:109], a[200:203], v[34:37], v[106:109]// 000000003A14: D3B5006A 0DAA45C8
	v_permlane32_swap_b32_e32 v30, v31                         // 000000003A1C: 7E3CB51F
	v_mfma_f32_16x16x32_bf16 v[110:113], a[204:207], v[34:37], v[110:113]// 000000003A20: D3B5006E 0DBA45CC
	ds_read_b64_tr_b16 a[172:173], v13 offset:11264            // 000000003A28: DBC62C00 AC00000D
	ds_read_b64_tr_b16 a[174:175], v13 offset:11520            // 000000003A30: DBC62D00 AE00000D
	ds_read_b64_tr_b16 a[176:177], v12 offset:12288            // 000000003A38: DBC63000 B000000C
	ds_read_b64_tr_b16 a[178:179], v12 offset:12544            // 000000003A40: DBC63100 B200000C
	ds_read_b64_tr_b16 a[180:181], v13 offset:12288            // 000000003A48: DBC63000 B400000D
	ds_read_b64_tr_b16 a[182:183], v13 offset:12544            // 000000003A50: DBC63100 B600000D
	ds_read_b64_tr_b16 a[184:185], v12 offset:13312            // 000000003A58: DBC63400 B800000C
	ds_read_b64_tr_b16 a[186:187], v12 offset:13568            // 000000003A60: DBC63500 BA00000C
	ds_read_b64_tr_b16 a[188:189], v13 offset:13312            // 000000003A68: DBC63400 BC00000D
	ds_read_b64_tr_b16 a[190:191], v13 offset:13568            // 000000003A70: DBC63500 BE00000D
	s_waitcnt lgkmcnt(0)                                       // 000000003A78: BF8CC07F
	v_mfma_f32_16x16x32_bf16 v[114:117], a[144:147], v[34:37], v[114:117]// 000000003A7C: D3B50072 0DCA4590
	ds_read_b64_tr_b16 a[192:193], v12 offset:14336            // 000000003A84: DBC63800 C000000C
	ds_read_b64_tr_b16 a[194:195], v12 offset:14592            // 000000003A8C: DBC63900 C200000C
	v_mfma_f32_16x16x32_bf16 v[118:121], a[148:151], v[34:37], v[118:121]// 000000003A94: D3B50076 0DDA4594
	s_waitcnt vmcnt(10)                                        // 000000003A9C: BF8C0F7A
	s_barrier                                                  // 000000003AA0: BF8A0000
	ds_read_b128 a[72:75], v18                                 // 000000003AA4: DBFE0000 48000012
	ds_read_b128 a[76:79], v18 offset:1024                     // 000000003AAC: DBFE0400 4C000012
	v_mfma_f32_16x16x32_bf16 v[122:125], a[152:155], v[34:37], v[122:125]// 000000003AB4: D3B5007A 0DEA4598
	ds_read_b64_tr_b16 a[196:197], v13 offset:14336            // 000000003ABC: DBC63800 C400000D
	ds_read_b64_tr_b16 a[198:199], v13 offset:14592            // 000000003AC4: DBC63900 C600000D
	v_mfma_f32_16x16x32_bf16 v[126:129], a[156:159], v[34:37], v[126:129]// 000000003ACC: D3B5007E 0DFA459C
	ds_read_b128 a[80:83], v18 offset:2048                     // 000000003AD4: DBFE0800 50000012
	ds_read_b128 a[84:87], v18 offset:3072                     // 000000003ADC: DBFE0C00 54000012
	v_mfma_f32_16x16x32_bf16 v[130:133], a[160:163], v[34:37], v[130:133]// 000000003AE4: D3B50082 0E0A45A0
	ds_read_b64_tr_b16 a[200:201], v12 offset:15360            // 000000003AEC: DBC63C00 C800000C
	ds_read_b64_tr_b16 a[202:203], v12 offset:15616            // 000000003AF4: DBC63D00 CA00000C
	v_mfma_f32_16x16x32_bf16 v[134:137], a[164:167], v[34:37], v[134:137]// 000000003AFC: D3B50086 0E1A45A4
	ds_read_b128 a[88:91], v18 offset:4096                     // 000000003B04: DBFE1000 58000012
	ds_read_b128 a[92:95], v18 offset:5120                     // 000000003B0C: DBFE1400 5C000012
	v_mfma_f32_16x16x32_bf16 v[138:141], a[168:171], v[34:37], v[138:141]// 000000003B14: D3B5008A 0E2A45A8
	ds_read_b64_tr_b16 a[204:205], v13 offset:15360            // 000000003B1C: DBC63C00 CC00000D
	ds_read_b64_tr_b16 a[206:207], v13 offset:15616            // 000000003B24: DBC63D00 CE00000D
	v_mfma_f32_16x16x32_bf16 v[142:145], a[172:175], v[34:37], v[142:145]// 000000003B2C: D3B5008E 0E3A45AC
	ds_read_b128 a[96:99], v18 offset:6144                     // 000000003B34: DBFE1800 60000012
	ds_read_b128 a[100:103], v18 offset:7168                   // 000000003B3C: DBFE1C00 64000012
	v_mfma_f32_16x16x32_bf16 v[146:149], a[176:179], v[34:37], v[146:149]// 000000003B44: D3B50092 0E4A45B0
	v_max3_f32 v29, v28, v29, v29                              // 000000003B4C: D1D3001D 04763B1C
	v_max3_f32 v29, v30, v31, v29                              // 000000003B54: D1D3001D 04763F1E
	v_mfma_f32_16x16x32_bf16 v[150:153], a[180:183], v[34:37], v[150:153]// 000000003B5C: D3B50096 0E5A45B4
	ds_read_b128 a[104:107], v18 offset:8192                   // 000000003B64: DBFE2000 68000012
	ds_read_b128 a[108:111], v18 offset:9216                   // 000000003B6C: DBFE2400 6C000012
	v_mfma_f32_16x16x32_bf16 v[154:157], a[184:187], v[34:37], v[154:157]// 000000003B74: D3B5009A 0E6A45B8
	v_mov_b32_e32 v28, 0xff800000                              // 000000003B7C: 7E3802FF FF800000
	v_cmp_eq_u32_e64 s[36:37], v28, v2                         // 000000003B84: D0CA0024 0002051C
	v_mfma_f32_16x16x32_bf16 v[158:161], a[188:191], v[34:37], v[158:161]// 000000003B8C: D3B5009E 0E7A45BC
	ds_read_b128 a[112:115], v18 offset:10240                  // 000000003B94: DBFE2800 70000012
	ds_read_b128 a[116:119], v18 offset:11264                  // 000000003B9C: DBFE2C00 74000012
	v_mfma_f32_16x16x32_bf16 v[162:165], a[192:195], v[34:37], v[162:165]// 000000003BA4: D3B500A2 0E8A45C0
	v_max_f32_e32 v29, v29, v2                                 // 000000003BAC: 163A051D
	v_sub_f32_e32 v16, v2, v29                                 // 000000003BB0: 04203B02
	v_mfma_f32_16x16x32_bf16 v[166:169], a[196:199], v[34:37], v[166:169]// 000000003BB4: D3B500A6 0E9A45C4
	ds_read_b128 a[120:123], v18 offset:12288                  // 000000003BBC: DBFE3000 78000012
	ds_read_b128 a[124:127], v18 offset:13312                  // 000000003BC4: DBFE3400 7C000012
	v_mfma_f32_16x16x32_bf16 v[170:173], a[200:203], v[34:37], v[170:173]// 000000003BCC: D3B500AA 0EAA45C8
	v_cndmask_b32_e64 v16, v16, 0, s[36:37]                    // 000000003BD4: D1000010 00910110
	v_mov_b32_e32 v2, v29                                      // 000000003BDC: 7E04031D
	v_mfma_f32_16x16x32_bf16 v[174:177], a[204:207], v[34:37], v[174:177]// 000000003BE0: D3B500AE 0EBA45CC
	ds_read_b128 a[128:131], v18 offset:14336                  // 000000003BE8: DBFE3800 80000012
	ds_read_b128 a[132:135], v18 offset:15360                  // 000000003BF0: DBFE3C00 84000012
	ds_read_b128 a[136:139], v18 offset:16384                  // 000000003BF8: DBFE4000 88000012
	ds_read_b128 a[140:143], v18 offset:17408                  // 000000003C00: DBFE4400 8C000012
	s_waitcnt lgkmcnt(0)                                       // 000000003C08: BF8CC07F
	v_mfma_f32_16x16x32_bf16 v[34:37], a[72:75], a[0:3], 0     // 000000003C0C: D3B50022 1A020148
	buffer_load_dword v24, v26, s[24:27], 0 offen              // 000000003C14: E0501000 8006181A
	v_mul_f32_e32 v29, s5, v29                                 // 000000003C1C: 0A3A3A05
	s_mov_b32 s56, 0x14000                                     // 000000003C20: BEB800FF 00014000
	s_mul_i32 s57, s7, 0x2400                                  // 000000003C28: 9239FF07 00002400
	s_add_u32 m0, s56, s57                                     // 000000003C30: 807C3938
	buffer_load_dwordx4 v32, s[20:23], 0 offen lds             // 000000003C34: E05D1000 80050020
	s_add_i32 m0, m0, 0x3c0                                    // 000000003C3C: 817CFF7C 000003C0
	v_mfma_f32_16x16x32_bf16 v[34:37], a[76:79], a[4:7], v[34:37]// 000000003C44: D3B50022 1C8A094C
	buffer_load_dwordx4 v32, s[20:23], 0 offen offset:64 lds   // 000000003C4C: E05D1040 80050020
	s_add_i32 m0, m0, 0x3c0                                    // 000000003C54: 817CFF7C 000003C0
	v_mfma_f32_16x16x32_bf16 v[34:37], a[80:83], a[8:11], v[34:37]// 000000003C5C: D3B50022 1C8A1150
	v_mul_f32_e32 v16, s5, v16                                 // 000000003C64: 0A202005
	v_exp_f32_e32 v16, v16                                     // 000000003C68: 7E204110
	v_mfma_f32_16x16x32_bf16 v[34:37], a[84:87], a[12:15], v[34:37]// 000000003C6C: D3B50022 1C8A1954
	v_add_u32_e32 v26, s73, v26                                // 000000003C74: 68343449
	ds_read_b128 a[72:75], v18 offset:18432                    // 000000003C78: DBFE4800 48000012
	ds_read_b128 a[76:79], v18 offset:19456                    // 000000003C80: DBFE4C00 4C000012
	v_fma_f32 v42, v42, s5, -v29                               // 000000003C88: D1CB002A 84740B2A
	v_mfma_f32_16x16x32_bf16 v[34:37], a[88:91], a[16:19], v[34:37]// 000000003C90: D3B50022 1C8A2158
	ds_read_b128 a[80:83], v18 offset:20480                    // 000000003C98: DBFE5000 50000012
	ds_read_b128 a[84:87], v18 offset:21504                    // 000000003CA0: DBFE5400 54000012
	v_fma_f32 v43, v43, s5, -v29                               // 000000003CA8: D1CB002B 84740B2B
	v_mfma_f32_16x16x32_bf16 v[34:37], a[92:95], a[20:23], v[34:37]// 000000003CB0: D3B50022 1C8A295C
	buffer_load_dwordx4 v32, s[20:23], 0 offen offset:128 lds  // 000000003CB8: E05D1080 80050020
	s_add_i32 m0, m0, 0x3c0                                    // 000000003CC0: 817CFF7C 000003C0
	v_mfma_f32_16x16x32_bf16 v[34:37], a[96:99], a[24:27], v[34:37]// 000000003CC8: D3B50022 1C8A3160
	v_fma_f32 v44, v44, s5, -v29                               // 000000003CD0: D1CB002C 84740B2C
	v_fma_f32 v45, v45, s5, -v29                               // 000000003CD8: D1CB002D 84740B2D
	v_mfma_f32_16x16x32_bf16 v[34:37], a[100:103], a[28:31], v[34:37]// 000000003CE0: D3B50022 1C8A3964
	ds_read_b128 a[88:91], v18 offset:22528                    // 000000003CE8: DBFE5800 58000012
	ds_read_b128 a[92:95], v18 offset:23552                    // 000000003CF0: DBFE5C00 5C000012
	v_fma_f32 v46, v46, s5, -v29                               // 000000003CF8: D1CB002E 84740B2E
	v_mfma_f32_16x16x32_bf16 v[34:37], a[104:107], a[32:35], v[34:37]// 000000003D00: D3B50022 1C8A4168
	ds_read_b128 a[96:99], v18 offset:24576                    // 000000003D08: DBFE6000 60000012
	ds_read_b128 a[100:103], v18 offset:25600                  // 000000003D10: DBFE6400 64000012
	v_fma_f32 v47, v47, s5, -v29                               // 000000003D18: D1CB002F 84740B2F
	v_mfma_f32_16x16x32_bf16 v[34:37], a[108:111], a[36:39], v[34:37]// 000000003D20: D3B50022 1C8A496C
	buffer_load_dwordx4 v32, s[20:23], 0 offen offset:192 lds  // 000000003D28: E05D10C0 80050020
	s_add_i32 m0, m0, 0x3c0                                    // 000000003D30: 817CFF7C 000003C0
	v_mfma_f32_16x16x32_bf16 v[34:37], a[112:115], a[40:43], v[34:37]// 000000003D38: D3B50022 1C8A5170
	v_fma_f32 v48, v48, s5, -v29                               // 000000003D40: D1CB0030 84740B30
	v_fma_f32 v49, v49, s5, -v29                               // 000000003D48: D1CB0031 84740B31
	v_mfma_f32_16x16x32_bf16 v[34:37], a[116:119], a[44:47], v[34:37]// 000000003D50: D3B50022 1C8A5974
	v_exp_f32_e32 v42, v42                                     // 000000003D58: 7E54412A
	v_mfma_f32_16x16x32_bf16 v[34:37], a[120:123], a[48:51], v[34:37]// 000000003D5C: D3B50022 1C8A6178
	ds_read_b128 a[104:107], v18 offset:26624                  // 000000003D64: DBFE6800 68000012
	ds_read_b128 a[108:111], v18 offset:27648                  // 000000003D6C: DBFE6C00 6C000012
	v_exp_f32_e32 v43, v43                                     // 000000003D74: 7E56412B
	v_mfma_f32_16x16x32_bf16 v[34:37], a[124:127], a[52:55], v[34:37]// 000000003D78: D3B50022 1C8A697C
	buffer_load_dwordx4 v32, s[20:23], 0 offen offset:256 lds  // 000000003D80: E05D1100 80050020
	s_add_i32 m0, m0, 0x3c0                                    // 000000003D88: 817CFF7C 000003C0
	v_mfma_f32_16x16x32_bf16 v[34:37], a[128:131], a[56:59], v[34:37]// 000000003D90: D3B50022 1C8A7180
	v_exp_f32_e32 v44, v44                                     // 000000003D98: 7E58412C
	v_mfma_f32_16x16x32_bf16 v[34:37], a[132:135], a[60:63], v[34:37]// 000000003D9C: D3B50022 1C8A7984
	ds_read_b128 a[112:115], v18 offset:28672                  // 000000003DA4: DBFE7000 70000012
	ds_read_b128 a[116:119], v18 offset:29696                  // 000000003DAC: DBFE7400 74000012
	v_exp_f32_e32 v45, v45                                     // 000000003DB4: 7E5A412D
	v_mfma_f32_16x16x32_bf16 v[34:37], a[136:139], a[64:67], v[34:37]// 000000003DB8: D3B50022 1C8A8188
	ds_read_b128 a[120:123], v18 offset:30720                  // 000000003DC0: DBFE7800 78000012
	ds_read_b128 a[124:127], v18 offset:31744                  // 000000003DC8: DBFE7C00 7C000012
	v_exp_f32_e32 v46, v46                                     // 000000003DD0: 7E5C412E
	v_mfma_f32_16x16x32_bf16 v[34:37], a[140:143], a[68:71], v[34:37]// 000000003DD4: D3B50022 1C8A898C
	ds_read_b128 a[128:131], v18 offset:32768                  // 000000003DDC: DBFE8000 80000012
	ds_read_b128 a[132:135], v18 offset:33792                  // 000000003DE4: DBFE8400 84000012
	v_exp_f32_e32 v47, v47                                     // 000000003DEC: 7E5E412F
	ds_read_b128 a[136:139], v18 offset:34816                  // 000000003DF0: DBFE8800 88000012
	ds_read_b128 a[140:143], v18 offset:35840                  // 000000003DF8: DBFE8C00 8C000012
	v_exp_f32_e32 v48, v48                                     // 000000003E00: 7E604130
	v_exp_f32_e32 v49, v49                                     // 000000003E04: 7E624131
	v_mul_f32_e32 v4, v16, v4                                  // 000000003E08: 0A080910
	v_mov_b32_e32 v28, v42                                     // 000000003E0C: 7E38032A
	v_add_f32_e32 v28, v43, v28                                // 000000003E10: 0238392B
	v_add_f32_e32 v28, v44, v28                                // 000000003E14: 0238392C
	v_add_f32_e32 v28, v45, v28                                // 000000003E18: 0238392D
	v_add_f32_e32 v28, v46, v28                                // 000000003E1C: 0238392E
	v_add_f32_e32 v28, v47, v28                                // 000000003E20: 0238392F
	v_add_f32_e32 v28, v48, v28                                // 000000003E24: 02383930
	v_add_f32_e32 v28, v49, v28                                // 000000003E28: 02383931
	v_add_f32_e32 v4, v28, v4                                  // 000000003E2C: 0208091C
	v_cvt_pk_bf16_f32 v42, v42, v43                            // 000000003E30: D268002A 0002572A
	v_cvt_pk_bf16_f32 v43, v44, v45                            // 000000003E38: D268002B 00025B2C
	v_cvt_pk_bf16_f32 v44, v46, v47                            // 000000003E40: D268002C 00025F2E
	v_cvt_pk_bf16_f32 v45, v48, v49                            // 000000003E48: D268002D 00026330
	s_nop 0                                                    // 000000003E50: BF800000
	v_permlane32_swap_b32_e32 v42, v44                         // 000000003E54: 7E54B52C
	v_permlane32_swap_b32_e32 v43, v45                         // 000000003E58: 7E56B52D
	s_nop 0                                                    // 000000003E5C: BF800000
	v_permlane16_swap_b32_e32 v42, v44                         // 000000003E60: 7E54B32C
	v_permlane16_swap_b32_e32 v43, v45                         // 000000003E64: 7E56B32D
	s_waitcnt lgkmcnt(0)                                       // 000000003E68: BF8CC07F
	v_mfma_f32_16x16x32_bf16 v[38:41], a[72:75], a[0:3], 0     // 000000003E6C: D3B50026 1A020148
	v_mul_f32_e32 v50, v16, v50                                // 000000003E74: 0A646510
	v_mul_f32_e32 v51, v16, v51                                // 000000003E78: 0A666710
	ds_read_b64_tr_b16 a[144:145], v14                         // 000000003E7C: DBC60000 9000000E
	ds_read_b64_tr_b16 a[146:147], v14 offset:256              // 000000003E84: DBC60100 9200000E
	v_mfma_f32_16x16x32_bf16 v[38:41], a[76:79], a[4:7], v[38:41]// 000000003E8C: D3B50026 1C9A094C
	buffer_load_dwordx4 v32, s[20:23], 0 offen offset:320 lds  // 000000003E94: E05D1140 80050020
	s_add_i32 m0, m0, 0x3c0                                    // 000000003E9C: 817CFF7C 000003C0
	v_mul_f32_e32 v52, v16, v52                                // 000000003EA4: 0A686910
	v_mul_f32_e32 v53, v16, v53                                // 000000003EA8: 0A6A6B10
	v_mfma_f32_16x16x32_bf16 v[38:41], a[80:83], a[8:11], v[38:41]// 000000003EAC: D3B50026 1C9A1150
	v_mul_f32_e32 v54, v16, v54                                // 000000003EB4: 0A6C6D10
	v_mul_f32_e32 v55, v16, v55                                // 000000003EB8: 0A6E6F10
	ds_read_b64_tr_b16 a[148:149], v15                         // 000000003EBC: DBC60000 9400000F
	ds_read_b64_tr_b16 a[150:151], v15 offset:256              // 000000003EC4: DBC60100 9600000F
	v_mfma_f32_16x16x32_bf16 v[38:41], a[84:87], a[12:15], v[38:41]// 000000003ECC: D3B50026 1C9A1954
	v_mul_f32_e32 v56, v16, v56                                // 000000003ED4: 0A707110
	v_mul_f32_e32 v57, v16, v57                                // 000000003ED8: 0A727310
	ds_read_b64_tr_b16 a[152:153], v14 offset:1024             // 000000003EDC: DBC60400 9800000E
	ds_read_b64_tr_b16 a[154:155], v14 offset:1280             // 000000003EE4: DBC60500 9A00000E
	v_mfma_f32_16x16x32_bf16 v[38:41], a[88:91], a[16:19], v[38:41]// 000000003EEC: D3B50026 1C9A2158
	v_mul_f32_e32 v58, v16, v58                                // 000000003EF4: 0A747510
	v_mul_f32_e32 v59, v16, v59                                // 000000003EF8: 0A767710
	ds_read_b64_tr_b16 a[156:157], v15 offset:1024             // 000000003EFC: DBC60400 9C00000F
	ds_read_b64_tr_b16 a[158:159], v15 offset:1280             // 000000003F04: DBC60500 9E00000F
	v_mfma_f32_16x16x32_bf16 v[38:41], a[92:95], a[20:23], v[38:41]// 000000003F0C: D3B50026 1C9A295C
	v_mul_f32_e32 v60, v16, v60                                // 000000003F14: 0A787910
	v_mul_f32_e32 v61, v16, v61                                // 000000003F18: 0A7A7B10
	ds_read_b64_tr_b16 a[160:161], v14 offset:2048             // 000000003F1C: DBC60800 A000000E
	ds_read_b64_tr_b16 a[162:163], v14 offset:2304             // 000000003F24: DBC60900 A200000E
	v_mfma_f32_16x16x32_bf16 v[38:41], a[96:99], a[24:27], v[38:41]// 000000003F2C: D3B50026 1C9A3160
	v_mul_f32_e32 v62, v16, v62                                // 000000003F34: 0A7C7D10
	v_mul_f32_e32 v63, v16, v63                                // 000000003F38: 0A7E7F10
	ds_read_b64_tr_b16 a[164:165], v15 offset:2048             // 000000003F3C: DBC60800 A400000F
	ds_read_b64_tr_b16 a[166:167], v15 offset:2304             // 000000003F44: DBC60900 A600000F
	v_mfma_f32_16x16x32_bf16 v[38:41], a[100:103], a[28:31], v[38:41]// 000000003F4C: D3B50026 1C9A3964
	buffer_load_dwordx4 v32, s[20:23], 0 offen offset:384 lds  // 000000003F54: E05D1180 80050020
	s_add_i32 m0, m0, 0x3c0                                    // 000000003F5C: 817CFF7C 000003C0
	v_mfma_f32_16x16x32_bf16 v[38:41], a[104:107], a[32:35], v[38:41]// 000000003F64: D3B50026 1C9A4168
	v_mul_f32_e32 v64, v16, v64                                // 000000003F6C: 0A808110
	v_mul_f32_e32 v65, v16, v65                                // 000000003F70: 0A828310
	ds_read_b64_tr_b16 a[168:169], v14 offset:3072             // 000000003F74: DBC60C00 A800000E
	ds_read_b64_tr_b16 a[170:171], v14 offset:3328             // 000000003F7C: DBC60D00 AA00000E
	v_mfma_f32_16x16x32_bf16 v[38:41], a[108:111], a[36:39], v[38:41]// 000000003F84: D3B50026 1C9A496C
	v_mul_f32_e32 v66, v16, v66                                // 000000003F8C: 0A848510
	v_mul_f32_e32 v67, v16, v67                                // 000000003F90: 0A868710
	ds_read_b64_tr_b16 a[172:173], v15 offset:3072             // 000000003F94: DBC60C00 AC00000F
	ds_read_b64_tr_b16 a[174:175], v15 offset:3328             // 000000003F9C: DBC60D00 AE00000F
	v_mfma_f32_16x16x32_bf16 v[38:41], a[112:115], a[40:43], v[38:41]// 000000003FA4: D3B50026 1C9A5170
	v_mul_f32_e32 v68, v16, v68                                // 000000003FAC: 0A888910
	v_mul_f32_e32 v69, v16, v69                                // 000000003FB0: 0A8A8B10
	ds_read_b64_tr_b16 a[176:177], v14 offset:4096             // 000000003FB4: DBC61000 B000000E
	ds_read_b64_tr_b16 a[178:179], v14 offset:4352             // 000000003FBC: DBC61100 B200000E
	v_mfma_f32_16x16x32_bf16 v[38:41], a[116:119], a[44:47], v[38:41]// 000000003FC4: D3B50026 1C9A5974
	buffer_load_dwordx4 v32, s[20:23], 0 offen offset:448 lds  // 000000003FCC: E05D11C0 80050020
	s_add_i32 m0, m0, 0x3c0                                    // 000000003FD4: 817CFF7C 000003C0
	v_mul_f32_e32 v70, v16, v70                                // 000000003FDC: 0A8C8D10
	v_mul_f32_e32 v71, v16, v71                                // 000000003FE0: 0A8E8F10
	v_mfma_f32_16x16x32_bf16 v[38:41], a[120:123], a[48:51], v[38:41]// 000000003FE4: D3B50026 1C9A6178
	v_mul_f32_e32 v72, v16, v72                                // 000000003FEC: 0A909110
	v_mul_f32_e32 v73, v16, v73                                // 000000003FF0: 0A929310
	ds_read_b64_tr_b16 a[180:181], v15 offset:4096             // 000000003FF4: DBC61000 B400000F
	ds_read_b64_tr_b16 a[182:183], v15 offset:4352             // 000000003FFC: DBC61100 B600000F
	v_mfma_f32_16x16x32_bf16 v[38:41], a[124:127], a[52:55], v[38:41]// 000000004004: D3B50026 1C9A697C
	v_mul_f32_e32 v74, v16, v74                                // 00000000400C: 0A949510
	v_mul_f32_e32 v75, v16, v75                                // 000000004010: 0A969710
	ds_read_b64_tr_b16 a[184:185], v14 offset:5120             // 000000004014: DBC61400 B800000E
	ds_read_b64_tr_b16 a[186:187], v14 offset:5376             // 00000000401C: DBC61500 BA00000E
	v_mfma_f32_16x16x32_bf16 v[38:41], a[128:131], a[56:59], v[38:41]// 000000004024: D3B50026 1C9A7180
	v_mul_f32_e32 v76, v16, v76                                // 00000000402C: 0A989910
	v_mul_f32_e32 v77, v16, v77                                // 000000004030: 0A9A9B10
	ds_read_b64_tr_b16 a[188:189], v15 offset:5120             // 000000004034: DBC61400 BC00000F
	ds_read_b64_tr_b16 a[190:191], v15 offset:5376             // 00000000403C: DBC61500 BE00000F
	v_mfma_f32_16x16x32_bf16 v[38:41], a[132:135], a[60:63], v[38:41]// 000000004044: D3B50026 1C9A7984
	buffer_load_dwordx4 v32, s[20:23], 0 offen offset:512 lds  // 00000000404C: E05D1200 80050020
	s_add_i32 m0, m0, 0x3c0                                    // 000000004054: 817CFF7C 000003C0
	v_mfma_f32_16x16x32_bf16 v[38:41], a[136:139], a[64:67], v[38:41]// 00000000405C: D3B50026 1C9A8188
	v_mul_f32_e32 v78, v16, v78                                // 000000004064: 0A9C9D10
	v_mul_f32_e32 v79, v16, v79                                // 000000004068: 0A9E9F10
	ds_read_b64_tr_b16 a[192:193], v14 offset:6144             // 00000000406C: DBC61800 C000000E
	ds_read_b64_tr_b16 a[194:195], v14 offset:6400             // 000000004074: DBC61900 C200000E
	ds_read_b64_tr_b16 a[196:197], v15 offset:6144             // 00000000407C: DBC61800 C400000F
	ds_read_b64_tr_b16 a[198:199], v15 offset:6400             // 000000004084: DBC61900 C600000F
	ds_read_b64_tr_b16 a[200:201], v14 offset:7168             // 00000000408C: DBC61C00 C800000E
	ds_read_b64_tr_b16 a[202:203], v14 offset:7424             // 000000004094: DBC61D00 CA00000E
	ds_read_b64_tr_b16 a[204:205], v15 offset:7168             // 00000000409C: DBC61C00 CC00000F
	ds_read_b64_tr_b16 a[206:207], v15 offset:7424             // 0000000040A4: DBC61D00 CE00000F
	v_mov_b32_e32 v30, v16                                     // 0000000040AC: 7E3C0310
	v_mov_b32_e32 v31, v16                                     // 0000000040B0: 7E3E0310
	v_pk_mul_f32 v[80:81], v[30:31], v[80:81]                  // 0000000040B4: D3B14050 1802A11E
	v_pk_mul_f32 v[82:83], v[30:31], v[82:83]                  // 0000000040BC: D3B14052 1802A51E
	v_pk_mul_f32 v[84:85], v[30:31], v[84:85]                  // 0000000040C4: D3B14054 1802A91E
	v_pk_mul_f32 v[86:87], v[30:31], v[86:87]                  // 0000000040CC: D3B14056 1802AD1E
	v_pk_mul_f32 v[88:89], v[30:31], v[88:89]                  // 0000000040D4: D3B14058 1802B11E
	v_pk_mul_f32 v[90:91], v[30:31], v[90:91]                  // 0000000040DC: D3B1405A 1802B51E
	v_pk_mul_f32 v[92:93], v[30:31], v[92:93]                  // 0000000040E4: D3B1405C 1802B91E
	v_pk_mul_f32 v[94:95], v[30:31], v[94:95]                  // 0000000040EC: D3B1405E 1802BD1E
	v_pk_mul_f32 v[96:97], v[30:31], v[96:97]                  // 0000000040F4: D3B14060 1802C11E
	v_pk_mul_f32 v[98:99], v[30:31], v[98:99]                  // 0000000040FC: D3B14062 1802C51E
	v_pk_mul_f32 v[100:101], v[30:31], v[100:101]              // 000000004104: D3B14064 1802C91E
	v_pk_mul_f32 v[102:103], v[30:31], v[102:103]              // 00000000410C: D3B14066 1802CD1E
	v_pk_mul_f32 v[104:105], v[30:31], v[104:105]              // 000000004114: D3B14068 1802D11E
	v_pk_mul_f32 v[106:107], v[30:31], v[106:107]              // 00000000411C: D3B1406A 1802D51E
	v_pk_mul_f32 v[108:109], v[30:31], v[108:109]              // 000000004124: D3B1406C 1802D91E
	v_pk_mul_f32 v[110:111], v[30:31], v[110:111]              // 00000000412C: D3B1406E 1802DD1E
	v_pk_mul_f32 v[112:113], v[30:31], v[112:113]              // 000000004134: D3B14070 1802E11E
	v_pk_mul_f32 v[114:115], v[30:31], v[114:115]              // 00000000413C: D3B14072 1802E51E
	v_pk_mul_f32 v[116:117], v[30:31], v[116:117]              // 000000004144: D3B14074 1802E91E
	v_pk_mul_f32 v[118:119], v[30:31], v[118:119]              // 00000000414C: D3B14076 1802ED1E
	v_pk_mul_f32 v[120:121], v[30:31], v[120:121]              // 000000004154: D3B14078 1802F11E
	v_pk_mul_f32 v[122:123], v[30:31], v[122:123]              // 00000000415C: D3B1407A 1802F51E
	v_pk_mul_f32 v[124:125], v[30:31], v[124:125]              // 000000004164: D3B1407C 1802F91E
	v_pk_mul_f32 v[126:127], v[30:31], v[126:127]              // 00000000416C: D3B1407E 1802FD1E
	v_pk_mul_f32 v[128:129], v[30:31], v[128:129]              // 000000004174: D3B14080 1803011E
	v_pk_mul_f32 v[130:131], v[30:31], v[130:131]              // 00000000417C: D3B14082 1803051E
	v_pk_mul_f32 v[132:133], v[30:31], v[132:133]              // 000000004184: D3B14084 1803091E
	v_pk_mul_f32 v[134:135], v[30:31], v[134:135]              // 00000000418C: D3B14086 18030D1E
	v_pk_mul_f32 v[136:137], v[30:31], v[136:137]              // 000000004194: D3B14088 1803111E
	v_pk_mul_f32 v[138:139], v[30:31], v[138:139]              // 00000000419C: D3B1408A 1803151E
	v_pk_mul_f32 v[140:141], v[30:31], v[140:141]              // 0000000041A4: D3B1408C 1803191E
	v_pk_mul_f32 v[142:143], v[30:31], v[142:143]              // 0000000041AC: D3B1408E 18031D1E
	v_pk_mul_f32 v[144:145], v[30:31], v[144:145]              // 0000000041B4: D3B14090 1803211E
	v_pk_mul_f32 v[146:147], v[30:31], v[146:147]              // 0000000041BC: D3B14092 1803251E
	v_pk_mul_f32 v[148:149], v[30:31], v[148:149]              // 0000000041C4: D3B14094 1803291E
	v_pk_mul_f32 v[150:151], v[30:31], v[150:151]              // 0000000041CC: D3B14096 18032D1E
	v_pk_mul_f32 v[152:153], v[30:31], v[152:153]              // 0000000041D4: D3B14098 1803311E
	v_pk_mul_f32 v[154:155], v[30:31], v[154:155]              // 0000000041DC: D3B1409A 1803351E
	v_pk_mul_f32 v[156:157], v[30:31], v[156:157]              // 0000000041E4: D3B1409C 1803391E
	v_pk_mul_f32 v[158:159], v[30:31], v[158:159]              // 0000000041EC: D3B1409E 18033D1E
	v_pk_mul_f32 v[160:161], v[30:31], v[160:161]              // 0000000041F4: D3B140A0 1803411E
	v_pk_mul_f32 v[162:163], v[30:31], v[162:163]              // 0000000041FC: D3B140A2 1803451E
	v_pk_mul_f32 v[164:165], v[30:31], v[164:165]              // 000000004204: D3B140A4 1803491E
	v_pk_mul_f32 v[166:167], v[30:31], v[166:167]              // 00000000420C: D3B140A6 18034D1E
	v_pk_mul_f32 v[168:169], v[30:31], v[168:169]              // 000000004214: D3B140A8 1803511E
	v_pk_mul_f32 v[170:171], v[30:31], v[170:171]              // 00000000421C: D3B140AA 1803551E
	v_pk_mul_f32 v[172:173], v[30:31], v[172:173]              // 000000004224: D3B140AC 1803591E
	v_pk_mul_f32 v[174:175], v[30:31], v[174:175]              // 00000000422C: D3B140AE 18035D1E
	v_pk_mul_f32 v[176:177], v[30:31], v[176:177]              // 000000004234: D3B140B0 1803611E
	v_mfma_f32_16x16x32_bf16 v[38:41], a[140:143], a[68:71], v[38:41]// 00000000423C: D3B50026 1C9A898C
	s_addk_i32 s70, 0x1                                        // 000000004244: B7460001
	s_cmp_lt_i32 s70, s71                                      // 000000004248: BF044746
	s_cbranch_scc0 label_39A4                                  // 00000000424C: BF840715
	s_waitcnt lgkmcnt(0)                                       // 000000004250: BF8CC07F
	v_mul_u32_u24_e64 v32, v23, s68                            // 000000004254: D1080020 00008917
	v_add_u32_e32 v32, v32, v1                                 // 00000000425C: 68400320
	v_mfma_f32_16x16x32_bf16 v[50:53], a[144:147], v[42:45], v[50:53]// 000000004260: D3B50032 0CCA5590
	v_mov_b32_e32 v29, v34                                     // 000000004268: 7E3A0322
	v_max3_f32 v29, v34, v35, v29                              // 00000000426C: D1D3001D 04764722
	v_mfma_f32_16x16x32_bf16 v[54:57], a[148:151], v[42:45], v[54:57]// 000000004274: D3B50036 0CDA5594
	ds_read_b64_tr_b16 a[144:145], v14 offset:8192             // 00000000427C: DBC62000 9000000E
	ds_read_b64_tr_b16 a[146:147], v14 offset:8448             // 000000004284: DBC62100 9200000E
	v_mfma_f32_16x16x32_bf16 v[58:61], a[152:155], v[42:45], v[58:61]// 00000000428C: D3B5003A 0CEA5598
	v_max3_f32 v29, v36, v37, v29                              // 000000004294: D1D3001D 04764B24
	v_max3_f32 v29, v38, v39, v29                              // 00000000429C: D1D3001D 04764F26
	v_mfma_f32_16x16x32_bf16 v[62:65], a[156:159], v[42:45], v[62:65]// 0000000042A4: D3B5003E 0CFA559C
	ds_read_b64_tr_b16 a[148:149], v15 offset:8192             // 0000000042AC: DBC62000 9400000F
	ds_read_b64_tr_b16 a[150:151], v15 offset:8448             // 0000000042B4: DBC62100 9600000F
	v_mfma_f32_16x16x32_bf16 v[66:69], a[160:163], v[42:45], v[66:69]// 0000000042BC: D3B50042 0D0A55A0
	v_max3_f32 v29, v40, v41, v29                              // 0000000042C4: D1D3001D 04765328
	v_mov_b32_e32 v28, v29                                     // 0000000042CC: 7E38031D
	v_mfma_f32_16x16x32_bf16 v[70:73], a[164:167], v[42:45], v[70:73]// 0000000042D0: D3B50046 0D1A55A4
	ds_read_b64_tr_b16 a[152:153], v14 offset:9216             // 0000000042D8: DBC62400 9800000E
	ds_read_b64_tr_b16 a[154:155], v14 offset:9472             // 0000000042E0: DBC62500 9A00000E
	v_mfma_f32_16x16x32_bf16 v[74:77], a[168:171], v[42:45], v[74:77]// 0000000042E8: D3B5004A 0D2A55A8
	v_mov_b32_e32 v29, v29                                     // 0000000042F0: 7E3A031D
	s_nop 1                                                    // 0000000042F4: BF800001
	v_mfma_f32_16x16x32_bf16 v[78:81], a[172:175], v[42:45], v[78:81]// 0000000042F8: D3B5004E 0D3A55AC
	ds_read_b64_tr_b16 a[156:157], v15 offset:9216             // 000000004300: DBC62400 9C00000F
	ds_read_b64_tr_b16 a[158:159], v15 offset:9472             // 000000004308: DBC62500 9E00000F
	v_mfma_f32_16x16x32_bf16 v[82:85], a[176:179], v[42:45], v[82:85]// 000000004310: D3B50052 0D4A55B0
	v_permlane16_swap_b32_e32 v28, v29                         // 000000004318: 7E38B31D
	v_mfma_f32_16x16x32_bf16 v[86:89], a[180:183], v[42:45], v[86:89]// 00000000431C: D3B50056 0D5A55B4
	ds_read_b64_tr_b16 a[160:161], v14 offset:10240            // 000000004324: DBC62800 A000000E
	ds_read_b64_tr_b16 a[162:163], v14 offset:10496            // 00000000432C: DBC62900 A200000E
	v_mfma_f32_16x16x32_bf16 v[90:93], a[184:187], v[42:45], v[90:93]// 000000004334: D3B5005A 0D6A55B8
	v_mov_b32_e32 v31, v28                                     // 00000000433C: 7E3E031C
	v_mov_b32_e32 v30, v29                                     // 000000004340: 7E3C031D
	v_mfma_f32_16x16x32_bf16 v[94:97], a[188:191], v[42:45], v[94:97]// 000000004344: D3B5005E 0D7A55BC
	ds_read_b64_tr_b16 a[164:165], v15 offset:10240            // 00000000434C: DBC62800 A400000F
	ds_read_b64_tr_b16 a[166:167], v15 offset:10496            // 000000004354: DBC62900 A600000F
	v_mfma_f32_16x16x32_bf16 v[98:101], a[192:195], v[42:45], v[98:101]// 00000000435C: D3B50062 0D8A55C0
	s_nop 1                                                    // 000000004364: BF800001
	v_permlane32_swap_b32_e32 v28, v29                         // 000000004368: 7E38B51D
	v_mfma_f32_16x16x32_bf16 v[102:105], a[196:199], v[42:45], v[102:105]// 00000000436C: D3B50066 0D9A55C4
	ds_read_b64_tr_b16 a[168:169], v14 offset:11264            // 000000004374: DBC62C00 A800000E
	ds_read_b64_tr_b16 a[170:171], v14 offset:11520            // 00000000437C: DBC62D00 AA00000E
	v_mfma_f32_16x16x32_bf16 v[106:109], a[200:203], v[42:45], v[106:109]// 000000004384: D3B5006A 0DAA55C8
	v_permlane32_swap_b32_e32 v30, v31                         // 00000000438C: 7E3CB51F
	v_mfma_f32_16x16x32_bf16 v[110:113], a[204:207], v[42:45], v[110:113]// 000000004390: D3B5006E 0DBA55CC
	ds_read_b64_tr_b16 a[172:173], v15 offset:11264            // 000000004398: DBC62C00 AC00000F
	ds_read_b64_tr_b16 a[174:175], v15 offset:11520            // 0000000043A0: DBC62D00 AE00000F
	ds_read_b64_tr_b16 a[176:177], v14 offset:12288            // 0000000043A8: DBC63000 B000000E
	ds_read_b64_tr_b16 a[178:179], v14 offset:12544            // 0000000043B0: DBC63100 B200000E
	ds_read_b64_tr_b16 a[180:181], v15 offset:12288            // 0000000043B8: DBC63000 B400000F
	ds_read_b64_tr_b16 a[182:183], v15 offset:12544            // 0000000043C0: DBC63100 B600000F
	ds_read_b64_tr_b16 a[184:185], v14 offset:13312            // 0000000043C8: DBC63400 B800000E
	ds_read_b64_tr_b16 a[186:187], v14 offset:13568            // 0000000043D0: DBC63500 BA00000E
	ds_read_b64_tr_b16 a[188:189], v15 offset:13312            // 0000000043D8: DBC63400 BC00000F
	ds_read_b64_tr_b16 a[190:191], v15 offset:13568            // 0000000043E0: DBC63500 BE00000F
	s_waitcnt lgkmcnt(0)                                       // 0000000043E8: BF8CC07F
	v_mfma_f32_16x16x32_bf16 v[114:117], a[144:147], v[42:45], v[114:117]// 0000000043EC: D3B50072 0DCA5590
	ds_read_b64_tr_b16 a[192:193], v14 offset:14336            // 0000000043F4: DBC63800 C000000E
	ds_read_b64_tr_b16 a[194:195], v14 offset:14592            // 0000000043FC: DBC63900 C200000E
	v_mfma_f32_16x16x32_bf16 v[118:121], a[148:151], v[42:45], v[118:121]// 000000004404: D3B50076 0DDA5594
	s_waitcnt vmcnt(10)                                        // 00000000440C: BF8C0F7A
	s_barrier                                                  // 000000004410: BF8A0000
	ds_read_b128 a[72:75], v19                                 // 000000004414: DBFE0000 48000013
	ds_read_b128 a[76:79], v19 offset:1024                     // 00000000441C: DBFE0400 4C000013
	v_mfma_f32_16x16x32_bf16 v[122:125], a[152:155], v[42:45], v[122:125]// 000000004424: D3B5007A 0DEA5598
	ds_read_b64_tr_b16 a[196:197], v15 offset:14336            // 00000000442C: DBC63800 C400000F
	ds_read_b64_tr_b16 a[198:199], v15 offset:14592            // 000000004434: DBC63900 C600000F
	v_mfma_f32_16x16x32_bf16 v[126:129], a[156:159], v[42:45], v[126:129]// 00000000443C: D3B5007E 0DFA559C
	ds_read_b128 a[80:83], v19 offset:2048                     // 000000004444: DBFE0800 50000013
	ds_read_b128 a[84:87], v19 offset:3072                     // 00000000444C: DBFE0C00 54000013
	v_mfma_f32_16x16x32_bf16 v[130:133], a[160:163], v[42:45], v[130:133]// 000000004454: D3B50082 0E0A55A0
	ds_read_b64_tr_b16 a[200:201], v14 offset:15360            // 00000000445C: DBC63C00 C800000E
	ds_read_b64_tr_b16 a[202:203], v14 offset:15616            // 000000004464: DBC63D00 CA00000E
	v_mfma_f32_16x16x32_bf16 v[134:137], a[164:167], v[42:45], v[134:137]// 00000000446C: D3B50086 0E1A55A4
	ds_read_b128 a[88:91], v19 offset:4096                     // 000000004474: DBFE1000 58000013
	ds_read_b128 a[92:95], v19 offset:5120                     // 00000000447C: DBFE1400 5C000013
	v_mfma_f32_16x16x32_bf16 v[138:141], a[168:171], v[42:45], v[138:141]// 000000004484: D3B5008A 0E2A55A8
	ds_read_b64_tr_b16 a[204:205], v15 offset:15360            // 00000000448C: DBC63C00 CC00000F
	ds_read_b64_tr_b16 a[206:207], v15 offset:15616            // 000000004494: DBC63D00 CE00000F
	v_mfma_f32_16x16x32_bf16 v[142:145], a[172:175], v[42:45], v[142:145]// 00000000449C: D3B5008E 0E3A55AC
	ds_read_b128 a[96:99], v19 offset:6144                     // 0000000044A4: DBFE1800 60000013
	ds_read_b128 a[100:103], v19 offset:7168                   // 0000000044AC: DBFE1C00 64000013
	v_mfma_f32_16x16x32_bf16 v[146:149], a[176:179], v[42:45], v[146:149]// 0000000044B4: D3B50092 0E4A55B0
	v_max3_f32 v29, v28, v29, v29                              // 0000000044BC: D1D3001D 04763B1C
	v_max3_f32 v29, v30, v31, v29                              // 0000000044C4: D1D3001D 04763F1E
	v_mfma_f32_16x16x32_bf16 v[150:153], a[180:183], v[42:45], v[150:153]// 0000000044CC: D3B50096 0E5A55B4
	ds_read_b128 a[104:107], v19 offset:8192                   // 0000000044D4: DBFE2000 68000013
	ds_read_b128 a[108:111], v19 offset:9216                   // 0000000044DC: DBFE2400 6C000013
	v_mfma_f32_16x16x32_bf16 v[154:157], a[184:187], v[42:45], v[154:157]// 0000000044E4: D3B5009A 0E6A55B8
	v_mov_b32_e32 v28, 0xff800000                              // 0000000044EC: 7E3802FF FF800000
	v_cmp_eq_u32_e64 s[36:37], v28, v2                         // 0000000044F4: D0CA0024 0002051C
	v_mfma_f32_16x16x32_bf16 v[158:161], a[188:191], v[42:45], v[158:161]// 0000000044FC: D3B5009E 0E7A55BC
	ds_read_b128 a[112:115], v19 offset:10240                  // 000000004504: DBFE2800 70000013
	ds_read_b128 a[116:119], v19 offset:11264                  // 00000000450C: DBFE2C00 74000013
	v_mfma_f32_16x16x32_bf16 v[162:165], a[192:195], v[42:45], v[162:165]// 000000004514: D3B500A2 0E8A55C0
	v_max_f32_e32 v29, v29, v2                                 // 00000000451C: 163A051D
	v_sub_f32_e32 v16, v2, v29                                 // 000000004520: 04203B02
	v_mfma_f32_16x16x32_bf16 v[166:169], a[196:199], v[42:45], v[166:169]// 000000004524: D3B500A6 0E9A55C4
	ds_read_b128 a[120:123], v19 offset:12288                  // 00000000452C: DBFE3000 78000013
	ds_read_b128 a[124:127], v19 offset:13312                  // 000000004534: DBFE3400 7C000013
	v_mfma_f32_16x16x32_bf16 v[170:173], a[200:203], v[42:45], v[170:173]// 00000000453C: D3B500AA 0EAA55C8
	v_cndmask_b32_e64 v16, v16, 0, s[36:37]                    // 000000004544: D1000010 00910110
	v_mov_b32_e32 v2, v29                                      // 00000000454C: 7E04031D
	v_mfma_f32_16x16x32_bf16 v[174:177], a[204:207], v[42:45], v[174:177]// 000000004550: D3B500AE 0EBA55CC
	ds_read_b128 a[128:131], v19 offset:14336                  // 000000004558: DBFE3800 80000013
	ds_read_b128 a[132:135], v19 offset:15360                  // 000000004560: DBFE3C00 84000013
	ds_read_b128 a[136:139], v19 offset:16384                  // 000000004568: DBFE4000 88000013
	ds_read_b128 a[140:143], v19 offset:17408                  // 000000004570: DBFE4400 8C000013
	s_waitcnt lgkmcnt(0)                                       // 000000004578: BF8CC07F
	v_mfma_f32_16x16x32_bf16 v[42:45], a[72:75], a[0:3], 0     // 00000000457C: D3B5002A 1A020148
	buffer_load_dword v25, v26, s[24:27], 0 offen              // 000000004584: E0501000 8006191A
	v_mul_f32_e32 v29, s5, v29                                 // 00000000458C: 0A3A3A05
	s_mov_b32 s56, 0x1d000                                     // 000000004590: BEB800FF 0001D000
	s_mul_i32 s57, s7, 0x2400                                  // 000000004598: 9239FF07 00002400
	s_add_u32 m0, s56, s57                                     // 0000000045A0: 807C3938
	buffer_load_dwordx4 v32, s[20:23], 0 offen lds             // 0000000045A4: E05D1000 80050020
	s_add_i32 m0, m0, 0x3c0                                    // 0000000045AC: 817CFF7C 000003C0
	v_mfma_f32_16x16x32_bf16 v[42:45], a[76:79], a[4:7], v[42:45]// 0000000045B4: D3B5002A 1CAA094C
	buffer_load_dwordx4 v32, s[20:23], 0 offen offset:64 lds   // 0000000045BC: E05D1040 80050020
	s_add_i32 m0, m0, 0x3c0                                    // 0000000045C4: 817CFF7C 000003C0
	v_mfma_f32_16x16x32_bf16 v[42:45], a[80:83], a[8:11], v[42:45]// 0000000045CC: D3B5002A 1CAA1150
	v_mul_f32_e32 v16, s5, v16                                 // 0000000045D4: 0A202005
	v_exp_f32_e32 v16, v16                                     // 0000000045D8: 7E204110
	v_mfma_f32_16x16x32_bf16 v[42:45], a[84:87], a[12:15], v[42:45]// 0000000045DC: D3B5002A 1CAA1954
	v_add_u32_e32 v26, s73, v26                                // 0000000045E4: 68343449
	ds_read_b128 a[72:75], v19 offset:18432                    // 0000000045E8: DBFE4800 48000013
	ds_read_b128 a[76:79], v19 offset:19456                    // 0000000045F0: DBFE4C00 4C000013
	v_fma_f32 v34, v34, s5, -v29                               // 0000000045F8: D1CB0022 84740B22
	v_mfma_f32_16x16x32_bf16 v[42:45], a[88:91], a[16:19], v[42:45]// 000000004600: D3B5002A 1CAA2158
	ds_read_b128 a[80:83], v19 offset:20480                    // 000000004608: DBFE5000 50000013
	ds_read_b128 a[84:87], v19 offset:21504                    // 000000004610: DBFE5400 54000013
	v_fma_f32 v35, v35, s5, -v29                               // 000000004618: D1CB0023 84740B23
	v_mfma_f32_16x16x32_bf16 v[42:45], a[92:95], a[20:23], v[42:45]// 000000004620: D3B5002A 1CAA295C
	buffer_load_dwordx4 v32, s[20:23], 0 offen offset:128 lds  // 000000004628: E05D1080 80050020
	s_add_i32 m0, m0, 0x3c0                                    // 000000004630: 817CFF7C 000003C0
	v_mfma_f32_16x16x32_bf16 v[42:45], a[96:99], a[24:27], v[42:45]// 000000004638: D3B5002A 1CAA3160
	v_fma_f32 v36, v36, s5, -v29                               // 000000004640: D1CB0024 84740B24
	v_fma_f32 v37, v37, s5, -v29                               // 000000004648: D1CB0025 84740B25
	v_mfma_f32_16x16x32_bf16 v[42:45], a[100:103], a[28:31], v[42:45]// 000000004650: D3B5002A 1CAA3964
	ds_read_b128 a[88:91], v19 offset:22528                    // 000000004658: DBFE5800 58000013
	ds_read_b128 a[92:95], v19 offset:23552                    // 000000004660: DBFE5C00 5C000013
	v_fma_f32 v38, v38, s5, -v29                               // 000000004668: D1CB0026 84740B26
	v_mfma_f32_16x16x32_bf16 v[42:45], a[104:107], a[32:35], v[42:45]// 000000004670: D3B5002A 1CAA4168
	ds_read_b128 a[96:99], v19 offset:24576                    // 000000004678: DBFE6000 60000013
	ds_read_b128 a[100:103], v19 offset:25600                  // 000000004680: DBFE6400 64000013
	v_fma_f32 v39, v39, s5, -v29                               // 000000004688: D1CB0027 84740B27
	v_mfma_f32_16x16x32_bf16 v[42:45], a[108:111], a[36:39], v[42:45]// 000000004690: D3B5002A 1CAA496C
	buffer_load_dwordx4 v32, s[20:23], 0 offen offset:192 lds  // 000000004698: E05D10C0 80050020
	s_add_i32 m0, m0, 0x3c0                                    // 0000000046A0: 817CFF7C 000003C0
	v_mfma_f32_16x16x32_bf16 v[42:45], a[112:115], a[40:43], v[42:45]// 0000000046A8: D3B5002A 1CAA5170
	v_fma_f32 v40, v40, s5, -v29                               // 0000000046B0: D1CB0028 84740B28
	v_fma_f32 v41, v41, s5, -v29                               // 0000000046B8: D1CB0029 84740B29
	v_mfma_f32_16x16x32_bf16 v[42:45], a[116:119], a[44:47], v[42:45]// 0000000046C0: D3B5002A 1CAA5974
	v_exp_f32_e32 v34, v34                                     // 0000000046C8: 7E444122
	v_mfma_f32_16x16x32_bf16 v[42:45], a[120:123], a[48:51], v[42:45]// 0000000046CC: D3B5002A 1CAA6178
	ds_read_b128 a[104:107], v19 offset:26624                  // 0000000046D4: DBFE6800 68000013
	ds_read_b128 a[108:111], v19 offset:27648                  // 0000000046DC: DBFE6C00 6C000013
	v_exp_f32_e32 v35, v35                                     // 0000000046E4: 7E464123
	v_mfma_f32_16x16x32_bf16 v[42:45], a[124:127], a[52:55], v[42:45]// 0000000046E8: D3B5002A 1CAA697C
	buffer_load_dwordx4 v32, s[20:23], 0 offen offset:256 lds  // 0000000046F0: E05D1100 80050020
	s_add_i32 m0, m0, 0x3c0                                    // 0000000046F8: 817CFF7C 000003C0
	v_mfma_f32_16x16x32_bf16 v[42:45], a[128:131], a[56:59], v[42:45]// 000000004700: D3B5002A 1CAA7180
	v_exp_f32_e32 v36, v36                                     // 000000004708: 7E484124
	v_mfma_f32_16x16x32_bf16 v[42:45], a[132:135], a[60:63], v[42:45]// 00000000470C: D3B5002A 1CAA7984
	ds_read_b128 a[112:115], v19 offset:28672                  // 000000004714: DBFE7000 70000013
	ds_read_b128 a[116:119], v19 offset:29696                  // 00000000471C: DBFE7400 74000013
	v_exp_f32_e32 v37, v37                                     // 000000004724: 7E4A4125
	v_mfma_f32_16x16x32_bf16 v[42:45], a[136:139], a[64:67], v[42:45]// 000000004728: D3B5002A 1CAA8188
	ds_read_b128 a[120:123], v19 offset:30720                  // 000000004730: DBFE7800 78000013
	ds_read_b128 a[124:127], v19 offset:31744                  // 000000004738: DBFE7C00 7C000013
	v_exp_f32_e32 v38, v38                                     // 000000004740: 7E4C4126
	v_mfma_f32_16x16x32_bf16 v[42:45], a[140:143], a[68:71], v[42:45]// 000000004744: D3B5002A 1CAA898C
	ds_read_b128 a[128:131], v19 offset:32768                  // 00000000474C: DBFE8000 80000013
	ds_read_b128 a[132:135], v19 offset:33792                  // 000000004754: DBFE8400 84000013
	v_exp_f32_e32 v39, v39                                     // 00000000475C: 7E4E4127
	ds_read_b128 a[136:139], v19 offset:34816                  // 000000004760: DBFE8800 88000013
	ds_read_b128 a[140:143], v19 offset:35840                  // 000000004768: DBFE8C00 8C000013
	v_exp_f32_e32 v40, v40                                     // 000000004770: 7E504128
	v_exp_f32_e32 v41, v41                                     // 000000004774: 7E524129
	v_mul_f32_e32 v4, v16, v4                                  // 000000004778: 0A080910
	v_mov_b32_e32 v28, v34                                     // 00000000477C: 7E380322
	v_add_f32_e32 v28, v35, v28                                // 000000004780: 02383923
	v_add_f32_e32 v28, v36, v28                                // 000000004784: 02383924
	;; [unrolled: 1-line block ×3, first 2 shown]
	v_add_f32_e32 v28, v38, v28                                // 00000000478C: 02383926
	v_add_f32_e32 v28, v39, v28                                // 000000004790: 02383927
	v_add_f32_e32 v28, v40, v28                                // 000000004794: 02383928
	;; [unrolled: 1-line block ×3, first 2 shown]
	v_add_f32_e32 v4, v28, v4                                  // 00000000479C: 0208091C
	v_cvt_pk_bf16_f32 v34, v34, v35                            // 0000000047A0: D2680022 00024722
	v_cvt_pk_bf16_f32 v35, v36, v37                            // 0000000047A8: D2680023 00024B24
	v_cvt_pk_bf16_f32 v36, v38, v39                            // 0000000047B0: D2680024 00024F26
	v_cvt_pk_bf16_f32 v37, v40, v41                            // 0000000047B8: D2680025 00025328
	s_nop 0                                                    // 0000000047C0: BF800000
	v_permlane32_swap_b32_e32 v34, v36                         // 0000000047C4: 7E44B524
	v_permlane32_swap_b32_e32 v35, v37                         // 0000000047C8: 7E46B525
	s_nop 0                                                    // 0000000047CC: BF800000
	v_permlane16_swap_b32_e32 v34, v36                         // 0000000047D0: 7E44B324
	v_permlane16_swap_b32_e32 v35, v37                         // 0000000047D4: 7E46B325
	s_waitcnt lgkmcnt(0)                                       // 0000000047D8: BF8CC07F
	v_mfma_f32_16x16x32_bf16 v[46:49], a[72:75], a[0:3], 0     // 0000000047DC: D3B5002E 1A020148
	v_mul_f32_e32 v50, v16, v50                                // 0000000047E4: 0A646510
	v_mul_f32_e32 v51, v16, v51                                // 0000000047E8: 0A666710
	ds_read_b64_tr_b16 a[144:145], v8                          // 0000000047EC: DBC60000 90000008
	ds_read_b64_tr_b16 a[146:147], v8 offset:256               // 0000000047F4: DBC60100 92000008
	v_mfma_f32_16x16x32_bf16 v[46:49], a[76:79], a[4:7], v[46:49]// 0000000047FC: D3B5002E 1CBA094C
	buffer_load_dwordx4 v32, s[20:23], 0 offen offset:320 lds  // 000000004804: E05D1140 80050020
	s_add_i32 m0, m0, 0x3c0                                    // 00000000480C: 817CFF7C 000003C0
	v_mul_f32_e32 v52, v16, v52                                // 000000004814: 0A686910
	v_mul_f32_e32 v53, v16, v53                                // 000000004818: 0A6A6B10
	v_mfma_f32_16x16x32_bf16 v[46:49], a[80:83], a[8:11], v[46:49]// 00000000481C: D3B5002E 1CBA1150
	v_mul_f32_e32 v54, v16, v54                                // 000000004824: 0A6C6D10
	v_mul_f32_e32 v55, v16, v55                                // 000000004828: 0A6E6F10
	ds_read_b64_tr_b16 a[148:149], v9                          // 00000000482C: DBC60000 94000009
	ds_read_b64_tr_b16 a[150:151], v9 offset:256               // 000000004834: DBC60100 96000009
	v_mfma_f32_16x16x32_bf16 v[46:49], a[84:87], a[12:15], v[46:49]// 00000000483C: D3B5002E 1CBA1954
	v_mul_f32_e32 v56, v16, v56                                // 000000004844: 0A707110
	v_mul_f32_e32 v57, v16, v57                                // 000000004848: 0A727310
	ds_read_b64_tr_b16 a[152:153], v8 offset:1024              // 00000000484C: DBC60400 98000008
	ds_read_b64_tr_b16 a[154:155], v8 offset:1280              // 000000004854: DBC60500 9A000008
	v_mfma_f32_16x16x32_bf16 v[46:49], a[88:91], a[16:19], v[46:49]// 00000000485C: D3B5002E 1CBA2158
	v_mul_f32_e32 v58, v16, v58                                // 000000004864: 0A747510
	v_mul_f32_e32 v59, v16, v59                                // 000000004868: 0A767710
	ds_read_b64_tr_b16 a[156:157], v9 offset:1024              // 00000000486C: DBC60400 9C000009
	ds_read_b64_tr_b16 a[158:159], v9 offset:1280              // 000000004874: DBC60500 9E000009
	v_mfma_f32_16x16x32_bf16 v[46:49], a[92:95], a[20:23], v[46:49]// 00000000487C: D3B5002E 1CBA295C
	v_mul_f32_e32 v60, v16, v60                                // 000000004884: 0A787910
	v_mul_f32_e32 v61, v16, v61                                // 000000004888: 0A7A7B10
	ds_read_b64_tr_b16 a[160:161], v8 offset:2048              // 00000000488C: DBC60800 A0000008
	ds_read_b64_tr_b16 a[162:163], v8 offset:2304              // 000000004894: DBC60900 A2000008
	v_mfma_f32_16x16x32_bf16 v[46:49], a[96:99], a[24:27], v[46:49]// 00000000489C: D3B5002E 1CBA3160
	v_mul_f32_e32 v62, v16, v62                                // 0000000048A4: 0A7C7D10
	v_mul_f32_e32 v63, v16, v63                                // 0000000048A8: 0A7E7F10
	ds_read_b64_tr_b16 a[164:165], v9 offset:2048              // 0000000048AC: DBC60800 A4000009
	ds_read_b64_tr_b16 a[166:167], v9 offset:2304              // 0000000048B4: DBC60900 A6000009
	v_mfma_f32_16x16x32_bf16 v[46:49], a[100:103], a[28:31], v[46:49]// 0000000048BC: D3B5002E 1CBA3964
	buffer_load_dwordx4 v32, s[20:23], 0 offen offset:384 lds  // 0000000048C4: E05D1180 80050020
	s_add_i32 m0, m0, 0x3c0                                    // 0000000048CC: 817CFF7C 000003C0
	v_mfma_f32_16x16x32_bf16 v[46:49], a[104:107], a[32:35], v[46:49]// 0000000048D4: D3B5002E 1CBA4168
	v_mul_f32_e32 v64, v16, v64                                // 0000000048DC: 0A808110
	v_mul_f32_e32 v65, v16, v65                                // 0000000048E0: 0A828310
	ds_read_b64_tr_b16 a[168:169], v8 offset:3072              // 0000000048E4: DBC60C00 A8000008
	ds_read_b64_tr_b16 a[170:171], v8 offset:3328              // 0000000048EC: DBC60D00 AA000008
	v_mfma_f32_16x16x32_bf16 v[46:49], a[108:111], a[36:39], v[46:49]// 0000000048F4: D3B5002E 1CBA496C
	v_mul_f32_e32 v66, v16, v66                                // 0000000048FC: 0A848510
	v_mul_f32_e32 v67, v16, v67                                // 000000004900: 0A868710
	ds_read_b64_tr_b16 a[172:173], v9 offset:3072              // 000000004904: DBC60C00 AC000009
	ds_read_b64_tr_b16 a[174:175], v9 offset:3328              // 00000000490C: DBC60D00 AE000009
	v_mfma_f32_16x16x32_bf16 v[46:49], a[112:115], a[40:43], v[46:49]// 000000004914: D3B5002E 1CBA5170
	v_mul_f32_e32 v68, v16, v68                                // 00000000491C: 0A888910
	v_mul_f32_e32 v69, v16, v69                                // 000000004920: 0A8A8B10
	ds_read_b64_tr_b16 a[176:177], v8 offset:4096              // 000000004924: DBC61000 B0000008
	ds_read_b64_tr_b16 a[178:179], v8 offset:4352              // 00000000492C: DBC61100 B2000008
	v_mfma_f32_16x16x32_bf16 v[46:49], a[116:119], a[44:47], v[46:49]// 000000004934: D3B5002E 1CBA5974
	buffer_load_dwordx4 v32, s[20:23], 0 offen offset:448 lds  // 00000000493C: E05D11C0 80050020
	s_add_i32 m0, m0, 0x3c0                                    // 000000004944: 817CFF7C 000003C0
	v_mul_f32_e32 v70, v16, v70                                // 00000000494C: 0A8C8D10
	v_mul_f32_e32 v71, v16, v71                                // 000000004950: 0A8E8F10
	v_mfma_f32_16x16x32_bf16 v[46:49], a[120:123], a[48:51], v[46:49]// 000000004954: D3B5002E 1CBA6178
	v_mul_f32_e32 v72, v16, v72                                // 00000000495C: 0A909110
	v_mul_f32_e32 v73, v16, v73                                // 000000004960: 0A929310
	ds_read_b64_tr_b16 a[180:181], v9 offset:4096              // 000000004964: DBC61000 B4000009
	ds_read_b64_tr_b16 a[182:183], v9 offset:4352              // 00000000496C: DBC61100 B6000009
	v_mfma_f32_16x16x32_bf16 v[46:49], a[124:127], a[52:55], v[46:49]// 000000004974: D3B5002E 1CBA697C
	v_mul_f32_e32 v74, v16, v74                                // 00000000497C: 0A949510
	v_mul_f32_e32 v75, v16, v75                                // 000000004980: 0A969710
	ds_read_b64_tr_b16 a[184:185], v8 offset:5120              // 000000004984: DBC61400 B8000008
	ds_read_b64_tr_b16 a[186:187], v8 offset:5376              // 00000000498C: DBC61500 BA000008
	v_mfma_f32_16x16x32_bf16 v[46:49], a[128:131], a[56:59], v[46:49]// 000000004994: D3B5002E 1CBA7180
	v_mul_f32_e32 v76, v16, v76                                // 00000000499C: 0A989910
	v_mul_f32_e32 v77, v16, v77                                // 0000000049A0: 0A9A9B10
	ds_read_b64_tr_b16 a[188:189], v9 offset:5120              // 0000000049A4: DBC61400 BC000009
	ds_read_b64_tr_b16 a[190:191], v9 offset:5376              // 0000000049AC: DBC61500 BE000009
	v_mfma_f32_16x16x32_bf16 v[46:49], a[132:135], a[60:63], v[46:49]// 0000000049B4: D3B5002E 1CBA7984
	buffer_load_dwordx4 v32, s[20:23], 0 offen offset:512 lds  // 0000000049BC: E05D1200 80050020
	s_add_i32 m0, m0, 0x3c0                                    // 0000000049C4: 817CFF7C 000003C0
	v_mfma_f32_16x16x32_bf16 v[46:49], a[136:139], a[64:67], v[46:49]// 0000000049CC: D3B5002E 1CBA8188
	v_mul_f32_e32 v78, v16, v78                                // 0000000049D4: 0A9C9D10
	v_mul_f32_e32 v79, v16, v79                                // 0000000049D8: 0A9E9F10
	ds_read_b64_tr_b16 a[192:193], v8 offset:6144              // 0000000049DC: DBC61800 C0000008
	ds_read_b64_tr_b16 a[194:195], v8 offset:6400              // 0000000049E4: DBC61900 C2000008
	ds_read_b64_tr_b16 a[196:197], v9 offset:6144              // 0000000049EC: DBC61800 C4000009
	ds_read_b64_tr_b16 a[198:199], v9 offset:6400              // 0000000049F4: DBC61900 C6000009
	ds_read_b64_tr_b16 a[200:201], v8 offset:7168              // 0000000049FC: DBC61C00 C8000008
	ds_read_b64_tr_b16 a[202:203], v8 offset:7424              // 000000004A04: DBC61D00 CA000008
	ds_read_b64_tr_b16 a[204:205], v9 offset:7168              // 000000004A0C: DBC61C00 CC000009
	ds_read_b64_tr_b16 a[206:207], v9 offset:7424              // 000000004A14: DBC61D00 CE000009
	v_mov_b32_e32 v30, v16                                     // 000000004A1C: 7E3C0310
	v_mov_b32_e32 v31, v16                                     // 000000004A20: 7E3E0310
	v_pk_mul_f32 v[80:81], v[30:31], v[80:81]                  // 000000004A24: D3B14050 1802A11E
	v_pk_mul_f32 v[82:83], v[30:31], v[82:83]                  // 000000004A2C: D3B14052 1802A51E
	v_pk_mul_f32 v[84:85], v[30:31], v[84:85]                  // 000000004A34: D3B14054 1802A91E
	v_pk_mul_f32 v[86:87], v[30:31], v[86:87]                  // 000000004A3C: D3B14056 1802AD1E
	v_pk_mul_f32 v[88:89], v[30:31], v[88:89]                  // 000000004A44: D3B14058 1802B11E
	v_pk_mul_f32 v[90:91], v[30:31], v[90:91]                  // 000000004A4C: D3B1405A 1802B51E
	v_pk_mul_f32 v[92:93], v[30:31], v[92:93]                  // 000000004A54: D3B1405C 1802B91E
	v_pk_mul_f32 v[94:95], v[30:31], v[94:95]                  // 000000004A5C: D3B1405E 1802BD1E
	v_pk_mul_f32 v[96:97], v[30:31], v[96:97]                  // 000000004A64: D3B14060 1802C11E
	v_pk_mul_f32 v[98:99], v[30:31], v[98:99]                  // 000000004A6C: D3B14062 1802C51E
	v_pk_mul_f32 v[100:101], v[30:31], v[100:101]              // 000000004A74: D3B14064 1802C91E
	v_pk_mul_f32 v[102:103], v[30:31], v[102:103]              // 000000004A7C: D3B14066 1802CD1E
	v_pk_mul_f32 v[104:105], v[30:31], v[104:105]              // 000000004A84: D3B14068 1802D11E
	v_pk_mul_f32 v[106:107], v[30:31], v[106:107]              // 000000004A8C: D3B1406A 1802D51E
	v_pk_mul_f32 v[108:109], v[30:31], v[108:109]              // 000000004A94: D3B1406C 1802D91E
	v_pk_mul_f32 v[110:111], v[30:31], v[110:111]              // 000000004A9C: D3B1406E 1802DD1E
	v_pk_mul_f32 v[112:113], v[30:31], v[112:113]              // 000000004AA4: D3B14070 1802E11E
	v_pk_mul_f32 v[114:115], v[30:31], v[114:115]              // 000000004AAC: D3B14072 1802E51E
	v_pk_mul_f32 v[116:117], v[30:31], v[116:117]              // 000000004AB4: D3B14074 1802E91E
	v_pk_mul_f32 v[118:119], v[30:31], v[118:119]              // 000000004ABC: D3B14076 1802ED1E
	v_pk_mul_f32 v[120:121], v[30:31], v[120:121]              // 000000004AC4: D3B14078 1802F11E
	v_pk_mul_f32 v[122:123], v[30:31], v[122:123]              // 000000004ACC: D3B1407A 1802F51E
	v_pk_mul_f32 v[124:125], v[30:31], v[124:125]              // 000000004AD4: D3B1407C 1802F91E
	v_pk_mul_f32 v[126:127], v[30:31], v[126:127]              // 000000004ADC: D3B1407E 1802FD1E
	v_pk_mul_f32 v[128:129], v[30:31], v[128:129]              // 000000004AE4: D3B14080 1803011E
	v_pk_mul_f32 v[130:131], v[30:31], v[130:131]              // 000000004AEC: D3B14082 1803051E
	v_pk_mul_f32 v[132:133], v[30:31], v[132:133]              // 000000004AF4: D3B14084 1803091E
	v_pk_mul_f32 v[134:135], v[30:31], v[134:135]              // 000000004AFC: D3B14086 18030D1E
	v_pk_mul_f32 v[136:137], v[30:31], v[136:137]              // 000000004B04: D3B14088 1803111E
	v_pk_mul_f32 v[138:139], v[30:31], v[138:139]              // 000000004B0C: D3B1408A 1803151E
	v_pk_mul_f32 v[140:141], v[30:31], v[140:141]              // 000000004B14: D3B1408C 1803191E
	v_pk_mul_f32 v[142:143], v[30:31], v[142:143]              // 000000004B1C: D3B1408E 18031D1E
	v_pk_mul_f32 v[144:145], v[30:31], v[144:145]              // 000000004B24: D3B14090 1803211E
	v_pk_mul_f32 v[146:147], v[30:31], v[146:147]              // 000000004B2C: D3B14092 1803251E
	v_pk_mul_f32 v[148:149], v[30:31], v[148:149]              // 000000004B34: D3B14094 1803291E
	v_pk_mul_f32 v[150:151], v[30:31], v[150:151]              // 000000004B3C: D3B14096 18032D1E
	v_pk_mul_f32 v[152:153], v[30:31], v[152:153]              // 000000004B44: D3B14098 1803311E
	v_pk_mul_f32 v[154:155], v[30:31], v[154:155]              // 000000004B4C: D3B1409A 1803351E
	v_pk_mul_f32 v[156:157], v[30:31], v[156:157]              // 000000004B54: D3B1409C 1803391E
	v_pk_mul_f32 v[158:159], v[30:31], v[158:159]              // 000000004B5C: D3B1409E 18033D1E
	v_pk_mul_f32 v[160:161], v[30:31], v[160:161]              // 000000004B64: D3B140A0 1803411E
	v_pk_mul_f32 v[162:163], v[30:31], v[162:163]              // 000000004B6C: D3B140A2 1803451E
	v_pk_mul_f32 v[164:165], v[30:31], v[164:165]              // 000000004B74: D3B140A4 1803491E
	v_pk_mul_f32 v[166:167], v[30:31], v[166:167]              // 000000004B7C: D3B140A6 18034D1E
	v_pk_mul_f32 v[168:169], v[30:31], v[168:169]              // 000000004B84: D3B140A8 1803511E
	v_pk_mul_f32 v[170:171], v[30:31], v[170:171]              // 000000004B8C: D3B140AA 1803551E
	v_pk_mul_f32 v[172:173], v[30:31], v[172:173]              // 000000004B94: D3B140AC 1803591E
	v_pk_mul_f32 v[174:175], v[30:31], v[174:175]              // 000000004B9C: D3B140AE 18035D1E
	v_pk_mul_f32 v[176:177], v[30:31], v[176:177]              // 000000004BA4: D3B140B0 1803611E
	v_mfma_f32_16x16x32_bf16 v[46:49], a[140:143], a[68:71], v[46:49]// 000000004BAC: D3B5002E 1CBA898C
	s_addk_i32 s70, 0x1                                        // 000000004BB4: B7460001
	s_cmp_lt_i32 s70, s71                                      // 000000004BB8: BF044746
	s_cbranch_scc0 label_39A4                                  // 000000004BBC: BF8404B9
	s_waitcnt lgkmcnt(0)                                       // 000000004BC0: BF8CC07F
	v_mul_u32_u24_e64 v32, v24, s68                            // 000000004BC4: D1080020 00008918
	v_add_u32_e32 v32, v32, v1                                 // 000000004BCC: 68400320
	v_mfma_f32_16x16x32_bf16 v[50:53], a[144:147], v[34:37], v[50:53]// 000000004BD0: D3B50032 0CCA4590
	v_mov_b32_e32 v29, v42                                     // 000000004BD8: 7E3A032A
	v_max3_f32 v29, v42, v43, v29                              // 000000004BDC: D1D3001D 0476572A
	v_mfma_f32_16x16x32_bf16 v[54:57], a[148:151], v[34:37], v[54:57]// 000000004BE4: D3B50036 0CDA4594
	ds_read_b64_tr_b16 a[144:145], v8 offset:8192              // 000000004BEC: DBC62000 90000008
	ds_read_b64_tr_b16 a[146:147], v8 offset:8448              // 000000004BF4: DBC62100 92000008
	v_mfma_f32_16x16x32_bf16 v[58:61], a[152:155], v[34:37], v[58:61]// 000000004BFC: D3B5003A 0CEA4598
	v_max3_f32 v29, v44, v45, v29                              // 000000004C04: D1D3001D 04765B2C
	v_max3_f32 v29, v46, v47, v29                              // 000000004C0C: D1D3001D 04765F2E
	v_mfma_f32_16x16x32_bf16 v[62:65], a[156:159], v[34:37], v[62:65]// 000000004C14: D3B5003E 0CFA459C
	ds_read_b64_tr_b16 a[148:149], v9 offset:8192              // 000000004C1C: DBC62000 94000009
	ds_read_b64_tr_b16 a[150:151], v9 offset:8448              // 000000004C24: DBC62100 96000009
	v_mfma_f32_16x16x32_bf16 v[66:69], a[160:163], v[34:37], v[66:69]// 000000004C2C: D3B50042 0D0A45A0
	v_max3_f32 v29, v48, v49, v29                              // 000000004C34: D1D3001D 04766330
	v_mov_b32_e32 v28, v29                                     // 000000004C3C: 7E38031D
	v_mfma_f32_16x16x32_bf16 v[70:73], a[164:167], v[34:37], v[70:73]// 000000004C40: D3B50046 0D1A45A4
	ds_read_b64_tr_b16 a[152:153], v8 offset:9216              // 000000004C48: DBC62400 98000008
	ds_read_b64_tr_b16 a[154:155], v8 offset:9472              // 000000004C50: DBC62500 9A000008
	v_mfma_f32_16x16x32_bf16 v[74:77], a[168:171], v[34:37], v[74:77]// 000000004C58: D3B5004A 0D2A45A8
	v_mov_b32_e32 v29, v29                                     // 000000004C60: 7E3A031D
	s_nop 1                                                    // 000000004C64: BF800001
	v_mfma_f32_16x16x32_bf16 v[78:81], a[172:175], v[34:37], v[78:81]// 000000004C68: D3B5004E 0D3A45AC
	ds_read_b64_tr_b16 a[156:157], v9 offset:9216              // 000000004C70: DBC62400 9C000009
	ds_read_b64_tr_b16 a[158:159], v9 offset:9472              // 000000004C78: DBC62500 9E000009
	v_mfma_f32_16x16x32_bf16 v[82:85], a[176:179], v[34:37], v[82:85]// 000000004C80: D3B50052 0D4A45B0
	v_permlane16_swap_b32_e32 v28, v29                         // 000000004C88: 7E38B31D
	v_mfma_f32_16x16x32_bf16 v[86:89], a[180:183], v[34:37], v[86:89]// 000000004C8C: D3B50056 0D5A45B4
	ds_read_b64_tr_b16 a[160:161], v8 offset:10240             // 000000004C94: DBC62800 A0000008
	ds_read_b64_tr_b16 a[162:163], v8 offset:10496             // 000000004C9C: DBC62900 A2000008
	v_mfma_f32_16x16x32_bf16 v[90:93], a[184:187], v[34:37], v[90:93]// 000000004CA4: D3B5005A 0D6A45B8
	v_mov_b32_e32 v31, v28                                     // 000000004CAC: 7E3E031C
	v_mov_b32_e32 v30, v29                                     // 000000004CB0: 7E3C031D
	v_mfma_f32_16x16x32_bf16 v[94:97], a[188:191], v[34:37], v[94:97]// 000000004CB4: D3B5005E 0D7A45BC
	ds_read_b64_tr_b16 a[164:165], v9 offset:10240             // 000000004CBC: DBC62800 A4000009
	ds_read_b64_tr_b16 a[166:167], v9 offset:10496             // 000000004CC4: DBC62900 A6000009
	v_mfma_f32_16x16x32_bf16 v[98:101], a[192:195], v[34:37], v[98:101]// 000000004CCC: D3B50062 0D8A45C0
	s_nop 1                                                    // 000000004CD4: BF800001
	v_permlane32_swap_b32_e32 v28, v29                         // 000000004CD8: 7E38B51D
	v_mfma_f32_16x16x32_bf16 v[102:105], a[196:199], v[34:37], v[102:105]// 000000004CDC: D3B50066 0D9A45C4
	ds_read_b64_tr_b16 a[168:169], v8 offset:11264             // 000000004CE4: DBC62C00 A8000008
	ds_read_b64_tr_b16 a[170:171], v8 offset:11520             // 000000004CEC: DBC62D00 AA000008
	v_mfma_f32_16x16x32_bf16 v[106:109], a[200:203], v[34:37], v[106:109]// 000000004CF4: D3B5006A 0DAA45C8
	v_permlane32_swap_b32_e32 v30, v31                         // 000000004CFC: 7E3CB51F
	v_mfma_f32_16x16x32_bf16 v[110:113], a[204:207], v[34:37], v[110:113]// 000000004D00: D3B5006E 0DBA45CC
	ds_read_b64_tr_b16 a[172:173], v9 offset:11264             // 000000004D08: DBC62C00 AC000009
	ds_read_b64_tr_b16 a[174:175], v9 offset:11520             // 000000004D10: DBC62D00 AE000009
	ds_read_b64_tr_b16 a[176:177], v8 offset:12288             // 000000004D18: DBC63000 B0000008
	ds_read_b64_tr_b16 a[178:179], v8 offset:12544             // 000000004D20: DBC63100 B2000008
	ds_read_b64_tr_b16 a[180:181], v9 offset:12288             // 000000004D28: DBC63000 B4000009
	ds_read_b64_tr_b16 a[182:183], v9 offset:12544             // 000000004D30: DBC63100 B6000009
	ds_read_b64_tr_b16 a[184:185], v8 offset:13312             // 000000004D38: DBC63400 B8000008
	ds_read_b64_tr_b16 a[186:187], v8 offset:13568             // 000000004D40: DBC63500 BA000008
	ds_read_b64_tr_b16 a[188:189], v9 offset:13312             // 000000004D48: DBC63400 BC000009
	ds_read_b64_tr_b16 a[190:191], v9 offset:13568             // 000000004D50: DBC63500 BE000009
	s_waitcnt lgkmcnt(0)                                       // 000000004D58: BF8CC07F
	v_mfma_f32_16x16x32_bf16 v[114:117], a[144:147], v[34:37], v[114:117]// 000000004D5C: D3B50072 0DCA4590
	ds_read_b64_tr_b16 a[192:193], v8 offset:14336             // 000000004D64: DBC63800 C0000008
	ds_read_b64_tr_b16 a[194:195], v8 offset:14592             // 000000004D6C: DBC63900 C2000008
	v_mfma_f32_16x16x32_bf16 v[118:121], a[148:151], v[34:37], v[118:121]// 000000004D74: D3B50076 0DDA4594
	s_waitcnt vmcnt(10)                                        // 000000004D7C: BF8C0F7A
	s_barrier                                                  // 000000004D80: BF8A0000
	ds_read_b128 a[72:75], v20                                 // 000000004D84: DBFE0000 48000014
	ds_read_b128 a[76:79], v20 offset:1024                     // 000000004D8C: DBFE0400 4C000014
	v_mfma_f32_16x16x32_bf16 v[122:125], a[152:155], v[34:37], v[122:125]// 000000004D94: D3B5007A 0DEA4598
	ds_read_b64_tr_b16 a[196:197], v9 offset:14336             // 000000004D9C: DBC63800 C4000009
	ds_read_b64_tr_b16 a[198:199], v9 offset:14592             // 000000004DA4: DBC63900 C6000009
	v_mfma_f32_16x16x32_bf16 v[126:129], a[156:159], v[34:37], v[126:129]// 000000004DAC: D3B5007E 0DFA459C
	ds_read_b128 a[80:83], v20 offset:2048                     // 000000004DB4: DBFE0800 50000014
	ds_read_b128 a[84:87], v20 offset:3072                     // 000000004DBC: DBFE0C00 54000014
	v_mfma_f32_16x16x32_bf16 v[130:133], a[160:163], v[34:37], v[130:133]// 000000004DC4: D3B50082 0E0A45A0
	ds_read_b64_tr_b16 a[200:201], v8 offset:15360             // 000000004DCC: DBC63C00 C8000008
	ds_read_b64_tr_b16 a[202:203], v8 offset:15616             // 000000004DD4: DBC63D00 CA000008
	v_mfma_f32_16x16x32_bf16 v[134:137], a[164:167], v[34:37], v[134:137]// 000000004DDC: D3B50086 0E1A45A4
	ds_read_b128 a[88:91], v20 offset:4096                     // 000000004DE4: DBFE1000 58000014
	ds_read_b128 a[92:95], v20 offset:5120                     // 000000004DEC: DBFE1400 5C000014
	v_mfma_f32_16x16x32_bf16 v[138:141], a[168:171], v[34:37], v[138:141]// 000000004DF4: D3B5008A 0E2A45A8
	ds_read_b64_tr_b16 a[204:205], v9 offset:15360             // 000000004DFC: DBC63C00 CC000009
	ds_read_b64_tr_b16 a[206:207], v9 offset:15616             // 000000004E04: DBC63D00 CE000009
	v_mfma_f32_16x16x32_bf16 v[142:145], a[172:175], v[34:37], v[142:145]// 000000004E0C: D3B5008E 0E3A45AC
	ds_read_b128 a[96:99], v20 offset:6144                     // 000000004E14: DBFE1800 60000014
	ds_read_b128 a[100:103], v20 offset:7168                   // 000000004E1C: DBFE1C00 64000014
	v_mfma_f32_16x16x32_bf16 v[146:149], a[176:179], v[34:37], v[146:149]// 000000004E24: D3B50092 0E4A45B0
	v_max3_f32 v29, v28, v29, v29                              // 000000004E2C: D1D3001D 04763B1C
	v_max3_f32 v29, v30, v31, v29                              // 000000004E34: D1D3001D 04763F1E
	v_mfma_f32_16x16x32_bf16 v[150:153], a[180:183], v[34:37], v[150:153]// 000000004E3C: D3B50096 0E5A45B4
	ds_read_b128 a[104:107], v20 offset:8192                   // 000000004E44: DBFE2000 68000014
	ds_read_b128 a[108:111], v20 offset:9216                   // 000000004E4C: DBFE2400 6C000014
	v_mfma_f32_16x16x32_bf16 v[154:157], a[184:187], v[34:37], v[154:157]// 000000004E54: D3B5009A 0E6A45B8
	v_mov_b32_e32 v28, 0xff800000                              // 000000004E5C: 7E3802FF FF800000
	v_cmp_eq_u32_e64 s[36:37], v28, v2                         // 000000004E64: D0CA0024 0002051C
	v_mfma_f32_16x16x32_bf16 v[158:161], a[188:191], v[34:37], v[158:161]// 000000004E6C: D3B5009E 0E7A45BC
	ds_read_b128 a[112:115], v20 offset:10240                  // 000000004E74: DBFE2800 70000014
	ds_read_b128 a[116:119], v20 offset:11264                  // 000000004E7C: DBFE2C00 74000014
	v_mfma_f32_16x16x32_bf16 v[162:165], a[192:195], v[34:37], v[162:165]// 000000004E84: D3B500A2 0E8A45C0
	v_max_f32_e32 v29, v29, v2                                 // 000000004E8C: 163A051D
	v_sub_f32_e32 v16, v2, v29                                 // 000000004E90: 04203B02
	v_mfma_f32_16x16x32_bf16 v[166:169], a[196:199], v[34:37], v[166:169]// 000000004E94: D3B500A6 0E9A45C4
	ds_read_b128 a[120:123], v20 offset:12288                  // 000000004E9C: DBFE3000 78000014
	ds_read_b128 a[124:127], v20 offset:13312                  // 000000004EA4: DBFE3400 7C000014
	v_mfma_f32_16x16x32_bf16 v[170:173], a[200:203], v[34:37], v[170:173]// 000000004EAC: D3B500AA 0EAA45C8
	v_cndmask_b32_e64 v16, v16, 0, s[36:37]                    // 000000004EB4: D1000010 00910110
	v_mov_b32_e32 v2, v29                                      // 000000004EBC: 7E04031D
	v_mfma_f32_16x16x32_bf16 v[174:177], a[204:207], v[34:37], v[174:177]// 000000004EC0: D3B500AE 0EBA45CC
	ds_read_b128 a[128:131], v20 offset:14336                  // 000000004EC8: DBFE3800 80000014
	ds_read_b128 a[132:135], v20 offset:15360                  // 000000004ED0: DBFE3C00 84000014
	ds_read_b128 a[136:139], v20 offset:16384                  // 000000004ED8: DBFE4000 88000014
	ds_read_b128 a[140:143], v20 offset:17408                  // 000000004EE0: DBFE4400 8C000014
	s_waitcnt lgkmcnt(0)                                       // 000000004EE8: BF8CC07F
	v_mfma_f32_16x16x32_bf16 v[34:37], a[72:75], a[0:3], 0     // 000000004EEC: D3B50022 1A020148
	buffer_load_dword v22, v26, s[24:27], 0 offen              // 000000004EF4: E0501000 8006161A
	v_mul_f32_e32 v29, s5, v29                                 // 000000004EFC: 0A3A3A05
	s_mov_b32 s56, 0x2000                                      // 000000004F00: BEB800FF 00002000
	s_mul_i32 s57, s7, 0x2400                                  // 000000004F08: 9239FF07 00002400
	s_add_u32 m0, s56, s57                                     // 000000004F10: 807C3938
	buffer_load_dwordx4 v32, s[20:23], 0 offen lds             // 000000004F14: E05D1000 80050020
	s_add_i32 m0, m0, 0x3c0                                    // 000000004F1C: 817CFF7C 000003C0
	v_mfma_f32_16x16x32_bf16 v[34:37], a[76:79], a[4:7], v[34:37]// 000000004F24: D3B50022 1C8A094C
	buffer_load_dwordx4 v32, s[20:23], 0 offen offset:64 lds   // 000000004F2C: E05D1040 80050020
	s_add_i32 m0, m0, 0x3c0                                    // 000000004F34: 817CFF7C 000003C0
	v_mfma_f32_16x16x32_bf16 v[34:37], a[80:83], a[8:11], v[34:37]// 000000004F3C: D3B50022 1C8A1150
	v_mul_f32_e32 v16, s5, v16                                 // 000000004F44: 0A202005
	v_exp_f32_e32 v16, v16                                     // 000000004F48: 7E204110
	v_mfma_f32_16x16x32_bf16 v[34:37], a[84:87], a[12:15], v[34:37]// 000000004F4C: D3B50022 1C8A1954
	v_add_u32_e32 v26, s73, v26                                // 000000004F54: 68343449
	ds_read_b128 a[72:75], v20 offset:18432                    // 000000004F58: DBFE4800 48000014
	ds_read_b128 a[76:79], v20 offset:19456                    // 000000004F60: DBFE4C00 4C000014
	v_fma_f32 v42, v42, s5, -v29                               // 000000004F68: D1CB002A 84740B2A
	v_mfma_f32_16x16x32_bf16 v[34:37], a[88:91], a[16:19], v[34:37]// 000000004F70: D3B50022 1C8A2158
	ds_read_b128 a[80:83], v20 offset:20480                    // 000000004F78: DBFE5000 50000014
	ds_read_b128 a[84:87], v20 offset:21504                    // 000000004F80: DBFE5400 54000014
	v_fma_f32 v43, v43, s5, -v29                               // 000000004F88: D1CB002B 84740B2B
	v_mfma_f32_16x16x32_bf16 v[34:37], a[92:95], a[20:23], v[34:37]// 000000004F90: D3B50022 1C8A295C
	buffer_load_dwordx4 v32, s[20:23], 0 offen offset:128 lds  // 000000004F98: E05D1080 80050020
	s_add_i32 m0, m0, 0x3c0                                    // 000000004FA0: 817CFF7C 000003C0
	v_mfma_f32_16x16x32_bf16 v[34:37], a[96:99], a[24:27], v[34:37]// 000000004FA8: D3B50022 1C8A3160
	v_fma_f32 v44, v44, s5, -v29                               // 000000004FB0: D1CB002C 84740B2C
	v_fma_f32 v45, v45, s5, -v29                               // 000000004FB8: D1CB002D 84740B2D
	v_mfma_f32_16x16x32_bf16 v[34:37], a[100:103], a[28:31], v[34:37]// 000000004FC0: D3B50022 1C8A3964
	ds_read_b128 a[88:91], v20 offset:22528                    // 000000004FC8: DBFE5800 58000014
	ds_read_b128 a[92:95], v20 offset:23552                    // 000000004FD0: DBFE5C00 5C000014
	v_fma_f32 v46, v46, s5, -v29                               // 000000004FD8: D1CB002E 84740B2E
	v_mfma_f32_16x16x32_bf16 v[34:37], a[104:107], a[32:35], v[34:37]// 000000004FE0: D3B50022 1C8A4168
	ds_read_b128 a[96:99], v20 offset:24576                    // 000000004FE8: DBFE6000 60000014
	ds_read_b128 a[100:103], v20 offset:25600                  // 000000004FF0: DBFE6400 64000014
	v_fma_f32 v47, v47, s5, -v29                               // 000000004FF8: D1CB002F 84740B2F
	v_mfma_f32_16x16x32_bf16 v[34:37], a[108:111], a[36:39], v[34:37]// 000000005000: D3B50022 1C8A496C
	buffer_load_dwordx4 v32, s[20:23], 0 offen offset:192 lds  // 000000005008: E05D10C0 80050020
	s_add_i32 m0, m0, 0x3c0                                    // 000000005010: 817CFF7C 000003C0
	v_mfma_f32_16x16x32_bf16 v[34:37], a[112:115], a[40:43], v[34:37]// 000000005018: D3B50022 1C8A5170
	v_fma_f32 v48, v48, s5, -v29                               // 000000005020: D1CB0030 84740B30
	v_fma_f32 v49, v49, s5, -v29                               // 000000005028: D1CB0031 84740B31
	v_mfma_f32_16x16x32_bf16 v[34:37], a[116:119], a[44:47], v[34:37]// 000000005030: D3B50022 1C8A5974
	v_exp_f32_e32 v42, v42                                     // 000000005038: 7E54412A
	v_mfma_f32_16x16x32_bf16 v[34:37], a[120:123], a[48:51], v[34:37]// 00000000503C: D3B50022 1C8A6178
	ds_read_b128 a[104:107], v20 offset:26624                  // 000000005044: DBFE6800 68000014
	ds_read_b128 a[108:111], v20 offset:27648                  // 00000000504C: DBFE6C00 6C000014
	v_exp_f32_e32 v43, v43                                     // 000000005054: 7E56412B
	v_mfma_f32_16x16x32_bf16 v[34:37], a[124:127], a[52:55], v[34:37]// 000000005058: D3B50022 1C8A697C
	buffer_load_dwordx4 v32, s[20:23], 0 offen offset:256 lds  // 000000005060: E05D1100 80050020
	s_add_i32 m0, m0, 0x3c0                                    // 000000005068: 817CFF7C 000003C0
	v_mfma_f32_16x16x32_bf16 v[34:37], a[128:131], a[56:59], v[34:37]// 000000005070: D3B50022 1C8A7180
	v_exp_f32_e32 v44, v44                                     // 000000005078: 7E58412C
	v_mfma_f32_16x16x32_bf16 v[34:37], a[132:135], a[60:63], v[34:37]// 00000000507C: D3B50022 1C8A7984
	ds_read_b128 a[112:115], v20 offset:28672                  // 000000005084: DBFE7000 70000014
	ds_read_b128 a[116:119], v20 offset:29696                  // 00000000508C: DBFE7400 74000014
	v_exp_f32_e32 v45, v45                                     // 000000005094: 7E5A412D
	v_mfma_f32_16x16x32_bf16 v[34:37], a[136:139], a[64:67], v[34:37]// 000000005098: D3B50022 1C8A8188
	ds_read_b128 a[120:123], v20 offset:30720                  // 0000000050A0: DBFE7800 78000014
	ds_read_b128 a[124:127], v20 offset:31744                  // 0000000050A8: DBFE7C00 7C000014
	v_exp_f32_e32 v46, v46                                     // 0000000050B0: 7E5C412E
	v_mfma_f32_16x16x32_bf16 v[34:37], a[140:143], a[68:71], v[34:37]// 0000000050B4: D3B50022 1C8A898C
	ds_read_b128 a[128:131], v20 offset:32768                  // 0000000050BC: DBFE8000 80000014
	ds_read_b128 a[132:135], v20 offset:33792                  // 0000000050C4: DBFE8400 84000014
	v_exp_f32_e32 v47, v47                                     // 0000000050CC: 7E5E412F
	ds_read_b128 a[136:139], v20 offset:34816                  // 0000000050D0: DBFE8800 88000014
	ds_read_b128 a[140:143], v20 offset:35840                  // 0000000050D8: DBFE8C00 8C000014
	v_exp_f32_e32 v48, v48                                     // 0000000050E0: 7E604130
	v_exp_f32_e32 v49, v49                                     // 0000000050E4: 7E624131
	v_mul_f32_e32 v4, v16, v4                                  // 0000000050E8: 0A080910
	v_mov_b32_e32 v28, v42                                     // 0000000050EC: 7E38032A
	v_add_f32_e32 v28, v43, v28                                // 0000000050F0: 0238392B
	v_add_f32_e32 v28, v44, v28                                // 0000000050F4: 0238392C
	v_add_f32_e32 v28, v45, v28                                // 0000000050F8: 0238392D
	v_add_f32_e32 v28, v46, v28                                // 0000000050FC: 0238392E
	v_add_f32_e32 v28, v47, v28                                // 000000005100: 0238392F
	v_add_f32_e32 v28, v48, v28                                // 000000005104: 02383930
	v_add_f32_e32 v28, v49, v28                                // 000000005108: 02383931
	v_add_f32_e32 v4, v28, v4                                  // 00000000510C: 0208091C
	v_cvt_pk_bf16_f32 v42, v42, v43                            // 000000005110: D268002A 0002572A
	v_cvt_pk_bf16_f32 v43, v44, v45                            // 000000005118: D268002B 00025B2C
	v_cvt_pk_bf16_f32 v44, v46, v47                            // 000000005120: D268002C 00025F2E
	v_cvt_pk_bf16_f32 v45, v48, v49                            // 000000005128: D268002D 00026330
	s_nop 0                                                    // 000000005130: BF800000
	v_permlane32_swap_b32_e32 v42, v44                         // 000000005134: 7E54B52C
	v_permlane32_swap_b32_e32 v43, v45                         // 000000005138: 7E56B52D
	s_nop 0                                                    // 00000000513C: BF800000
	v_permlane16_swap_b32_e32 v42, v44                         // 000000005140: 7E54B32C
	v_permlane16_swap_b32_e32 v43, v45                         // 000000005144: 7E56B32D
	s_waitcnt lgkmcnt(0)                                       // 000000005148: BF8CC07F
	v_mfma_f32_16x16x32_bf16 v[38:41], a[72:75], a[0:3], 0     // 00000000514C: D3B50026 1A020148
	v_mul_f32_e32 v50, v16, v50                                // 000000005154: 0A646510
	v_mul_f32_e32 v51, v16, v51                                // 000000005158: 0A666710
	ds_read_b64_tr_b16 a[144:145], v10                         // 00000000515C: DBC60000 9000000A
	ds_read_b64_tr_b16 a[146:147], v10 offset:256              // 000000005164: DBC60100 9200000A
	v_mfma_f32_16x16x32_bf16 v[38:41], a[76:79], a[4:7], v[38:41]// 00000000516C: D3B50026 1C9A094C
	buffer_load_dwordx4 v32, s[20:23], 0 offen offset:320 lds  // 000000005174: E05D1140 80050020
	s_add_i32 m0, m0, 0x3c0                                    // 00000000517C: 817CFF7C 000003C0
	v_mul_f32_e32 v52, v16, v52                                // 000000005184: 0A686910
	v_mul_f32_e32 v53, v16, v53                                // 000000005188: 0A6A6B10
	v_mfma_f32_16x16x32_bf16 v[38:41], a[80:83], a[8:11], v[38:41]// 00000000518C: D3B50026 1C9A1150
	v_mul_f32_e32 v54, v16, v54                                // 000000005194: 0A6C6D10
	v_mul_f32_e32 v55, v16, v55                                // 000000005198: 0A6E6F10
	ds_read_b64_tr_b16 a[148:149], v11                         // 00000000519C: DBC60000 9400000B
	ds_read_b64_tr_b16 a[150:151], v11 offset:256              // 0000000051A4: DBC60100 9600000B
	v_mfma_f32_16x16x32_bf16 v[38:41], a[84:87], a[12:15], v[38:41]// 0000000051AC: D3B50026 1C9A1954
	v_mul_f32_e32 v56, v16, v56                                // 0000000051B4: 0A707110
	v_mul_f32_e32 v57, v16, v57                                // 0000000051B8: 0A727310
	ds_read_b64_tr_b16 a[152:153], v10 offset:1024             // 0000000051BC: DBC60400 9800000A
	ds_read_b64_tr_b16 a[154:155], v10 offset:1280             // 0000000051C4: DBC60500 9A00000A
	v_mfma_f32_16x16x32_bf16 v[38:41], a[88:91], a[16:19], v[38:41]// 0000000051CC: D3B50026 1C9A2158
	v_mul_f32_e32 v58, v16, v58                                // 0000000051D4: 0A747510
	v_mul_f32_e32 v59, v16, v59                                // 0000000051D8: 0A767710
	ds_read_b64_tr_b16 a[156:157], v11 offset:1024             // 0000000051DC: DBC60400 9C00000B
	ds_read_b64_tr_b16 a[158:159], v11 offset:1280             // 0000000051E4: DBC60500 9E00000B
	v_mfma_f32_16x16x32_bf16 v[38:41], a[92:95], a[20:23], v[38:41]// 0000000051EC: D3B50026 1C9A295C
	v_mul_f32_e32 v60, v16, v60                                // 0000000051F4: 0A787910
	v_mul_f32_e32 v61, v16, v61                                // 0000000051F8: 0A7A7B10
	ds_read_b64_tr_b16 a[160:161], v10 offset:2048             // 0000000051FC: DBC60800 A000000A
	ds_read_b64_tr_b16 a[162:163], v10 offset:2304             // 000000005204: DBC60900 A200000A
	v_mfma_f32_16x16x32_bf16 v[38:41], a[96:99], a[24:27], v[38:41]// 00000000520C: D3B50026 1C9A3160
	v_mul_f32_e32 v62, v16, v62                                // 000000005214: 0A7C7D10
	v_mul_f32_e32 v63, v16, v63                                // 000000005218: 0A7E7F10
	ds_read_b64_tr_b16 a[164:165], v11 offset:2048             // 00000000521C: DBC60800 A400000B
	ds_read_b64_tr_b16 a[166:167], v11 offset:2304             // 000000005224: DBC60900 A600000B
	v_mfma_f32_16x16x32_bf16 v[38:41], a[100:103], a[28:31], v[38:41]// 00000000522C: D3B50026 1C9A3964
	buffer_load_dwordx4 v32, s[20:23], 0 offen offset:384 lds  // 000000005234: E05D1180 80050020
	s_add_i32 m0, m0, 0x3c0                                    // 00000000523C: 817CFF7C 000003C0
	v_mfma_f32_16x16x32_bf16 v[38:41], a[104:107], a[32:35], v[38:41]// 000000005244: D3B50026 1C9A4168
	v_mul_f32_e32 v64, v16, v64                                // 00000000524C: 0A808110
	v_mul_f32_e32 v65, v16, v65                                // 000000005250: 0A828310
	ds_read_b64_tr_b16 a[168:169], v10 offset:3072             // 000000005254: DBC60C00 A800000A
	ds_read_b64_tr_b16 a[170:171], v10 offset:3328             // 00000000525C: DBC60D00 AA00000A
	v_mfma_f32_16x16x32_bf16 v[38:41], a[108:111], a[36:39], v[38:41]// 000000005264: D3B50026 1C9A496C
	v_mul_f32_e32 v66, v16, v66                                // 00000000526C: 0A848510
	v_mul_f32_e32 v67, v16, v67                                // 000000005270: 0A868710
	ds_read_b64_tr_b16 a[172:173], v11 offset:3072             // 000000005274: DBC60C00 AC00000B
	ds_read_b64_tr_b16 a[174:175], v11 offset:3328             // 00000000527C: DBC60D00 AE00000B
	v_mfma_f32_16x16x32_bf16 v[38:41], a[112:115], a[40:43], v[38:41]// 000000005284: D3B50026 1C9A5170
	v_mul_f32_e32 v68, v16, v68                                // 00000000528C: 0A888910
	v_mul_f32_e32 v69, v16, v69                                // 000000005290: 0A8A8B10
	ds_read_b64_tr_b16 a[176:177], v10 offset:4096             // 000000005294: DBC61000 B000000A
	ds_read_b64_tr_b16 a[178:179], v10 offset:4352             // 00000000529C: DBC61100 B200000A
	v_mfma_f32_16x16x32_bf16 v[38:41], a[116:119], a[44:47], v[38:41]// 0000000052A4: D3B50026 1C9A5974
	buffer_load_dwordx4 v32, s[20:23], 0 offen offset:448 lds  // 0000000052AC: E05D11C0 80050020
	s_add_i32 m0, m0, 0x3c0                                    // 0000000052B4: 817CFF7C 000003C0
	v_mul_f32_e32 v70, v16, v70                                // 0000000052BC: 0A8C8D10
	v_mul_f32_e32 v71, v16, v71                                // 0000000052C0: 0A8E8F10
	v_mfma_f32_16x16x32_bf16 v[38:41], a[120:123], a[48:51], v[38:41]// 0000000052C4: D3B50026 1C9A6178
	v_mul_f32_e32 v72, v16, v72                                // 0000000052CC: 0A909110
	v_mul_f32_e32 v73, v16, v73                                // 0000000052D0: 0A929310
	ds_read_b64_tr_b16 a[180:181], v11 offset:4096             // 0000000052D4: DBC61000 B400000B
	ds_read_b64_tr_b16 a[182:183], v11 offset:4352             // 0000000052DC: DBC61100 B600000B
	v_mfma_f32_16x16x32_bf16 v[38:41], a[124:127], a[52:55], v[38:41]// 0000000052E4: D3B50026 1C9A697C
	v_mul_f32_e32 v74, v16, v74                                // 0000000052EC: 0A949510
	v_mul_f32_e32 v75, v16, v75                                // 0000000052F0: 0A969710
	ds_read_b64_tr_b16 a[184:185], v10 offset:5120             // 0000000052F4: DBC61400 B800000A
	ds_read_b64_tr_b16 a[186:187], v10 offset:5376             // 0000000052FC: DBC61500 BA00000A
	v_mfma_f32_16x16x32_bf16 v[38:41], a[128:131], a[56:59], v[38:41]// 000000005304: D3B50026 1C9A7180
	v_mul_f32_e32 v76, v16, v76                                // 00000000530C: 0A989910
	v_mul_f32_e32 v77, v16, v77                                // 000000005310: 0A9A9B10
	ds_read_b64_tr_b16 a[188:189], v11 offset:5120             // 000000005314: DBC61400 BC00000B
	ds_read_b64_tr_b16 a[190:191], v11 offset:5376             // 00000000531C: DBC61500 BE00000B
	v_mfma_f32_16x16x32_bf16 v[38:41], a[132:135], a[60:63], v[38:41]// 000000005324: D3B50026 1C9A7984
	buffer_load_dwordx4 v32, s[20:23], 0 offen offset:512 lds  // 00000000532C: E05D1200 80050020
	s_add_i32 m0, m0, 0x3c0                                    // 000000005334: 817CFF7C 000003C0
	v_mfma_f32_16x16x32_bf16 v[38:41], a[136:139], a[64:67], v[38:41]// 00000000533C: D3B50026 1C9A8188
	v_mul_f32_e32 v78, v16, v78                                // 000000005344: 0A9C9D10
	v_mul_f32_e32 v79, v16, v79                                // 000000005348: 0A9E9F10
	ds_read_b64_tr_b16 a[192:193], v10 offset:6144             // 00000000534C: DBC61800 C000000A
	ds_read_b64_tr_b16 a[194:195], v10 offset:6400             // 000000005354: DBC61900 C200000A
	ds_read_b64_tr_b16 a[196:197], v11 offset:6144             // 00000000535C: DBC61800 C400000B
	ds_read_b64_tr_b16 a[198:199], v11 offset:6400             // 000000005364: DBC61900 C600000B
	ds_read_b64_tr_b16 a[200:201], v10 offset:7168             // 00000000536C: DBC61C00 C800000A
	ds_read_b64_tr_b16 a[202:203], v10 offset:7424             // 000000005374: DBC61D00 CA00000A
	ds_read_b64_tr_b16 a[204:205], v11 offset:7168             // 00000000537C: DBC61C00 CC00000B
	ds_read_b64_tr_b16 a[206:207], v11 offset:7424             // 000000005384: DBC61D00 CE00000B
	v_mov_b32_e32 v30, v16                                     // 00000000538C: 7E3C0310
	v_mov_b32_e32 v31, v16                                     // 000000005390: 7E3E0310
	v_pk_mul_f32 v[80:81], v[30:31], v[80:81]                  // 000000005394: D3B14050 1802A11E
	v_pk_mul_f32 v[82:83], v[30:31], v[82:83]                  // 00000000539C: D3B14052 1802A51E
	v_pk_mul_f32 v[84:85], v[30:31], v[84:85]                  // 0000000053A4: D3B14054 1802A91E
	v_pk_mul_f32 v[86:87], v[30:31], v[86:87]                  // 0000000053AC: D3B14056 1802AD1E
	v_pk_mul_f32 v[88:89], v[30:31], v[88:89]                  // 0000000053B4: D3B14058 1802B11E
	v_pk_mul_f32 v[90:91], v[30:31], v[90:91]                  // 0000000053BC: D3B1405A 1802B51E
	v_pk_mul_f32 v[92:93], v[30:31], v[92:93]                  // 0000000053C4: D3B1405C 1802B91E
	v_pk_mul_f32 v[94:95], v[30:31], v[94:95]                  // 0000000053CC: D3B1405E 1802BD1E
	v_pk_mul_f32 v[96:97], v[30:31], v[96:97]                  // 0000000053D4: D3B14060 1802C11E
	v_pk_mul_f32 v[98:99], v[30:31], v[98:99]                  // 0000000053DC: D3B14062 1802C51E
	v_pk_mul_f32 v[100:101], v[30:31], v[100:101]              // 0000000053E4: D3B14064 1802C91E
	v_pk_mul_f32 v[102:103], v[30:31], v[102:103]              // 0000000053EC: D3B14066 1802CD1E
	v_pk_mul_f32 v[104:105], v[30:31], v[104:105]              // 0000000053F4: D3B14068 1802D11E
	v_pk_mul_f32 v[106:107], v[30:31], v[106:107]              // 0000000053FC: D3B1406A 1802D51E
	v_pk_mul_f32 v[108:109], v[30:31], v[108:109]              // 000000005404: D3B1406C 1802D91E
	v_pk_mul_f32 v[110:111], v[30:31], v[110:111]              // 00000000540C: D3B1406E 1802DD1E
	v_pk_mul_f32 v[112:113], v[30:31], v[112:113]              // 000000005414: D3B14070 1802E11E
	v_pk_mul_f32 v[114:115], v[30:31], v[114:115]              // 00000000541C: D3B14072 1802E51E
	v_pk_mul_f32 v[116:117], v[30:31], v[116:117]              // 000000005424: D3B14074 1802E91E
	v_pk_mul_f32 v[118:119], v[30:31], v[118:119]              // 00000000542C: D3B14076 1802ED1E
	v_pk_mul_f32 v[120:121], v[30:31], v[120:121]              // 000000005434: D3B14078 1802F11E
	v_pk_mul_f32 v[122:123], v[30:31], v[122:123]              // 00000000543C: D3B1407A 1802F51E
	v_pk_mul_f32 v[124:125], v[30:31], v[124:125]              // 000000005444: D3B1407C 1802F91E
	v_pk_mul_f32 v[126:127], v[30:31], v[126:127]              // 00000000544C: D3B1407E 1802FD1E
	v_pk_mul_f32 v[128:129], v[30:31], v[128:129]              // 000000005454: D3B14080 1803011E
	v_pk_mul_f32 v[130:131], v[30:31], v[130:131]              // 00000000545C: D3B14082 1803051E
	v_pk_mul_f32 v[132:133], v[30:31], v[132:133]              // 000000005464: D3B14084 1803091E
	v_pk_mul_f32 v[134:135], v[30:31], v[134:135]              // 00000000546C: D3B14086 18030D1E
	v_pk_mul_f32 v[136:137], v[30:31], v[136:137]              // 000000005474: D3B14088 1803111E
	v_pk_mul_f32 v[138:139], v[30:31], v[138:139]              // 00000000547C: D3B1408A 1803151E
	v_pk_mul_f32 v[140:141], v[30:31], v[140:141]              // 000000005484: D3B1408C 1803191E
	v_pk_mul_f32 v[142:143], v[30:31], v[142:143]              // 00000000548C: D3B1408E 18031D1E
	v_pk_mul_f32 v[144:145], v[30:31], v[144:145]              // 000000005494: D3B14090 1803211E
	v_pk_mul_f32 v[146:147], v[30:31], v[146:147]              // 00000000549C: D3B14092 1803251E
	v_pk_mul_f32 v[148:149], v[30:31], v[148:149]              // 0000000054A4: D3B14094 1803291E
	v_pk_mul_f32 v[150:151], v[30:31], v[150:151]              // 0000000054AC: D3B14096 18032D1E
	v_pk_mul_f32 v[152:153], v[30:31], v[152:153]              // 0000000054B4: D3B14098 1803311E
	v_pk_mul_f32 v[154:155], v[30:31], v[154:155]              // 0000000054BC: D3B1409A 1803351E
	v_pk_mul_f32 v[156:157], v[30:31], v[156:157]              // 0000000054C4: D3B1409C 1803391E
	v_pk_mul_f32 v[158:159], v[30:31], v[158:159]              // 0000000054CC: D3B1409E 18033D1E
	v_pk_mul_f32 v[160:161], v[30:31], v[160:161]              // 0000000054D4: D3B140A0 1803411E
	v_pk_mul_f32 v[162:163], v[30:31], v[162:163]              // 0000000054DC: D3B140A2 1803451E
	v_pk_mul_f32 v[164:165], v[30:31], v[164:165]              // 0000000054E4: D3B140A4 1803491E
	v_pk_mul_f32 v[166:167], v[30:31], v[166:167]              // 0000000054EC: D3B140A6 18034D1E
	v_pk_mul_f32 v[168:169], v[30:31], v[168:169]              // 0000000054F4: D3B140A8 1803511E
	v_pk_mul_f32 v[170:171], v[30:31], v[170:171]              // 0000000054FC: D3B140AA 1803551E
	v_pk_mul_f32 v[172:173], v[30:31], v[172:173]              // 000000005504: D3B140AC 1803591E
	v_pk_mul_f32 v[174:175], v[30:31], v[174:175]              // 00000000550C: D3B140AE 18035D1E
	v_pk_mul_f32 v[176:177], v[30:31], v[176:177]              // 000000005514: D3B140B0 1803611E
	v_mfma_f32_16x16x32_bf16 v[38:41], a[140:143], a[68:71], v[38:41]// 00000000551C: D3B50026 1C9A898C
	s_addk_i32 s70, 0x1                                        // 000000005524: B7460001
	s_cmp_lt_i32 s70, s71                                      // 000000005528: BF044746
	s_cbranch_scc0 label_39A4                                  // 00000000552C: BF84025D
	s_waitcnt lgkmcnt(0)                                       // 000000005530: BF8CC07F
	v_mul_u32_u24_e64 v32, v25, s68                            // 000000005534: D1080020 00008919
	v_add_u32_e32 v32, v32, v1                                 // 00000000553C: 68400320
	v_mfma_f32_16x16x32_bf16 v[50:53], a[144:147], v[42:45], v[50:53]// 000000005540: D3B50032 0CCA5590
	v_mov_b32_e32 v29, v34                                     // 000000005548: 7E3A0322
	v_max3_f32 v29, v34, v35, v29                              // 00000000554C: D1D3001D 04764722
	v_mfma_f32_16x16x32_bf16 v[54:57], a[148:151], v[42:45], v[54:57]// 000000005554: D3B50036 0CDA5594
	ds_read_b64_tr_b16 a[144:145], v10 offset:8192             // 00000000555C: DBC62000 9000000A
	ds_read_b64_tr_b16 a[146:147], v10 offset:8448             // 000000005564: DBC62100 9200000A
	v_mfma_f32_16x16x32_bf16 v[58:61], a[152:155], v[42:45], v[58:61]// 00000000556C: D3B5003A 0CEA5598
	v_max3_f32 v29, v36, v37, v29                              // 000000005574: D1D3001D 04764B24
	v_max3_f32 v29, v38, v39, v29                              // 00000000557C: D1D3001D 04764F26
	v_mfma_f32_16x16x32_bf16 v[62:65], a[156:159], v[42:45], v[62:65]// 000000005584: D3B5003E 0CFA559C
	ds_read_b64_tr_b16 a[148:149], v11 offset:8192             // 00000000558C: DBC62000 9400000B
	ds_read_b64_tr_b16 a[150:151], v11 offset:8448             // 000000005594: DBC62100 9600000B
	v_mfma_f32_16x16x32_bf16 v[66:69], a[160:163], v[42:45], v[66:69]// 00000000559C: D3B50042 0D0A55A0
	v_max3_f32 v29, v40, v41, v29                              // 0000000055A4: D1D3001D 04765328
	v_mov_b32_e32 v28, v29                                     // 0000000055AC: 7E38031D
	v_mfma_f32_16x16x32_bf16 v[70:73], a[164:167], v[42:45], v[70:73]// 0000000055B0: D3B50046 0D1A55A4
	ds_read_b64_tr_b16 a[152:153], v10 offset:9216             // 0000000055B8: DBC62400 9800000A
	ds_read_b64_tr_b16 a[154:155], v10 offset:9472             // 0000000055C0: DBC62500 9A00000A
	v_mfma_f32_16x16x32_bf16 v[74:77], a[168:171], v[42:45], v[74:77]// 0000000055C8: D3B5004A 0D2A55A8
	v_mov_b32_e32 v29, v29                                     // 0000000055D0: 7E3A031D
	s_nop 1                                                    // 0000000055D4: BF800001
	v_mfma_f32_16x16x32_bf16 v[78:81], a[172:175], v[42:45], v[78:81]// 0000000055D8: D3B5004E 0D3A55AC
	ds_read_b64_tr_b16 a[156:157], v11 offset:9216             // 0000000055E0: DBC62400 9C00000B
	ds_read_b64_tr_b16 a[158:159], v11 offset:9472             // 0000000055E8: DBC62500 9E00000B
	v_mfma_f32_16x16x32_bf16 v[82:85], a[176:179], v[42:45], v[82:85]// 0000000055F0: D3B50052 0D4A55B0
	v_permlane16_swap_b32_e32 v28, v29                         // 0000000055F8: 7E38B31D
	v_mfma_f32_16x16x32_bf16 v[86:89], a[180:183], v[42:45], v[86:89]// 0000000055FC: D3B50056 0D5A55B4
	ds_read_b64_tr_b16 a[160:161], v10 offset:10240            // 000000005604: DBC62800 A000000A
	ds_read_b64_tr_b16 a[162:163], v10 offset:10496            // 00000000560C: DBC62900 A200000A
	v_mfma_f32_16x16x32_bf16 v[90:93], a[184:187], v[42:45], v[90:93]// 000000005614: D3B5005A 0D6A55B8
	v_mov_b32_e32 v31, v28                                     // 00000000561C: 7E3E031C
	v_mov_b32_e32 v30, v29                                     // 000000005620: 7E3C031D
	v_mfma_f32_16x16x32_bf16 v[94:97], a[188:191], v[42:45], v[94:97]// 000000005624: D3B5005E 0D7A55BC
	ds_read_b64_tr_b16 a[164:165], v11 offset:10240            // 00000000562C: DBC62800 A400000B
	ds_read_b64_tr_b16 a[166:167], v11 offset:10496            // 000000005634: DBC62900 A600000B
	v_mfma_f32_16x16x32_bf16 v[98:101], a[192:195], v[42:45], v[98:101]// 00000000563C: D3B50062 0D8A55C0
	s_nop 1                                                    // 000000005644: BF800001
	v_permlane32_swap_b32_e32 v28, v29                         // 000000005648: 7E38B51D
	v_mfma_f32_16x16x32_bf16 v[102:105], a[196:199], v[42:45], v[102:105]// 00000000564C: D3B50066 0D9A55C4
	ds_read_b64_tr_b16 a[168:169], v10 offset:11264            // 000000005654: DBC62C00 A800000A
	ds_read_b64_tr_b16 a[170:171], v10 offset:11520            // 00000000565C: DBC62D00 AA00000A
	v_mfma_f32_16x16x32_bf16 v[106:109], a[200:203], v[42:45], v[106:109]// 000000005664: D3B5006A 0DAA55C8
	v_permlane32_swap_b32_e32 v30, v31                         // 00000000566C: 7E3CB51F
	v_mfma_f32_16x16x32_bf16 v[110:113], a[204:207], v[42:45], v[110:113]// 000000005670: D3B5006E 0DBA55CC
	ds_read_b64_tr_b16 a[172:173], v11 offset:11264            // 000000005678: DBC62C00 AC00000B
	ds_read_b64_tr_b16 a[174:175], v11 offset:11520            // 000000005680: DBC62D00 AE00000B
	ds_read_b64_tr_b16 a[176:177], v10 offset:12288            // 000000005688: DBC63000 B000000A
	ds_read_b64_tr_b16 a[178:179], v10 offset:12544            // 000000005690: DBC63100 B200000A
	ds_read_b64_tr_b16 a[180:181], v11 offset:12288            // 000000005698: DBC63000 B400000B
	ds_read_b64_tr_b16 a[182:183], v11 offset:12544            // 0000000056A0: DBC63100 B600000B
	ds_read_b64_tr_b16 a[184:185], v10 offset:13312            // 0000000056A8: DBC63400 B800000A
	ds_read_b64_tr_b16 a[186:187], v10 offset:13568            // 0000000056B0: DBC63500 BA00000A
	ds_read_b64_tr_b16 a[188:189], v11 offset:13312            // 0000000056B8: DBC63400 BC00000B
	ds_read_b64_tr_b16 a[190:191], v11 offset:13568            // 0000000056C0: DBC63500 BE00000B
	s_waitcnt lgkmcnt(0)                                       // 0000000056C8: BF8CC07F
	v_mfma_f32_16x16x32_bf16 v[114:117], a[144:147], v[42:45], v[114:117]// 0000000056CC: D3B50072 0DCA5590
	ds_read_b64_tr_b16 a[192:193], v10 offset:14336            // 0000000056D4: DBC63800 C000000A
	ds_read_b64_tr_b16 a[194:195], v10 offset:14592            // 0000000056DC: DBC63900 C200000A
	v_mfma_f32_16x16x32_bf16 v[118:121], a[148:151], v[42:45], v[118:121]// 0000000056E4: D3B50076 0DDA5594
	s_waitcnt vmcnt(10)                                        // 0000000056EC: BF8C0F7A
	s_barrier                                                  // 0000000056F0: BF8A0000
	ds_read_b128 a[72:75], v21                                 // 0000000056F4: DBFE0000 48000015
	ds_read_b128 a[76:79], v21 offset:1024                     // 0000000056FC: DBFE0400 4C000015
	v_mfma_f32_16x16x32_bf16 v[122:125], a[152:155], v[42:45], v[122:125]// 000000005704: D3B5007A 0DEA5598
	ds_read_b64_tr_b16 a[196:197], v11 offset:14336            // 00000000570C: DBC63800 C400000B
	ds_read_b64_tr_b16 a[198:199], v11 offset:14592            // 000000005714: DBC63900 C600000B
	v_mfma_f32_16x16x32_bf16 v[126:129], a[156:159], v[42:45], v[126:129]// 00000000571C: D3B5007E 0DFA559C
	ds_read_b128 a[80:83], v21 offset:2048                     // 000000005724: DBFE0800 50000015
	ds_read_b128 a[84:87], v21 offset:3072                     // 00000000572C: DBFE0C00 54000015
	v_mfma_f32_16x16x32_bf16 v[130:133], a[160:163], v[42:45], v[130:133]// 000000005734: D3B50082 0E0A55A0
	ds_read_b64_tr_b16 a[200:201], v10 offset:15360            // 00000000573C: DBC63C00 C800000A
	ds_read_b64_tr_b16 a[202:203], v10 offset:15616            // 000000005744: DBC63D00 CA00000A
	v_mfma_f32_16x16x32_bf16 v[134:137], a[164:167], v[42:45], v[134:137]// 00000000574C: D3B50086 0E1A55A4
	ds_read_b128 a[88:91], v21 offset:4096                     // 000000005754: DBFE1000 58000015
	ds_read_b128 a[92:95], v21 offset:5120                     // 00000000575C: DBFE1400 5C000015
	v_mfma_f32_16x16x32_bf16 v[138:141], a[168:171], v[42:45], v[138:141]// 000000005764: D3B5008A 0E2A55A8
	ds_read_b64_tr_b16 a[204:205], v11 offset:15360            // 00000000576C: DBC63C00 CC00000B
	ds_read_b64_tr_b16 a[206:207], v11 offset:15616            // 000000005774: DBC63D00 CE00000B
	v_mfma_f32_16x16x32_bf16 v[142:145], a[172:175], v[42:45], v[142:145]// 00000000577C: D3B5008E 0E3A55AC
	ds_read_b128 a[96:99], v21 offset:6144                     // 000000005784: DBFE1800 60000015
	ds_read_b128 a[100:103], v21 offset:7168                   // 00000000578C: DBFE1C00 64000015
	v_mfma_f32_16x16x32_bf16 v[146:149], a[176:179], v[42:45], v[146:149]// 000000005794: D3B50092 0E4A55B0
	v_max3_f32 v29, v28, v29, v29                              // 00000000579C: D1D3001D 04763B1C
	v_max3_f32 v29, v30, v31, v29                              // 0000000057A4: D1D3001D 04763F1E
	v_mfma_f32_16x16x32_bf16 v[150:153], a[180:183], v[42:45], v[150:153]// 0000000057AC: D3B50096 0E5A55B4
	ds_read_b128 a[104:107], v21 offset:8192                   // 0000000057B4: DBFE2000 68000015
	ds_read_b128 a[108:111], v21 offset:9216                   // 0000000057BC: DBFE2400 6C000015
	v_mfma_f32_16x16x32_bf16 v[154:157], a[184:187], v[42:45], v[154:157]// 0000000057C4: D3B5009A 0E6A55B8
	v_mov_b32_e32 v28, 0xff800000                              // 0000000057CC: 7E3802FF FF800000
	v_cmp_eq_u32_e64 s[36:37], v28, v2                         // 0000000057D4: D0CA0024 0002051C
	v_mfma_f32_16x16x32_bf16 v[158:161], a[188:191], v[42:45], v[158:161]// 0000000057DC: D3B5009E 0E7A55BC
	ds_read_b128 a[112:115], v21 offset:10240                  // 0000000057E4: DBFE2800 70000015
	ds_read_b128 a[116:119], v21 offset:11264                  // 0000000057EC: DBFE2C00 74000015
	v_mfma_f32_16x16x32_bf16 v[162:165], a[192:195], v[42:45], v[162:165]// 0000000057F4: D3B500A2 0E8A55C0
	v_max_f32_e32 v29, v29, v2                                 // 0000000057FC: 163A051D
	v_sub_f32_e32 v16, v2, v29                                 // 000000005800: 04203B02
	v_mfma_f32_16x16x32_bf16 v[166:169], a[196:199], v[42:45], v[166:169]// 000000005804: D3B500A6 0E9A55C4
	ds_read_b128 a[120:123], v21 offset:12288                  // 00000000580C: DBFE3000 78000015
	ds_read_b128 a[124:127], v21 offset:13312                  // 000000005814: DBFE3400 7C000015
	v_mfma_f32_16x16x32_bf16 v[170:173], a[200:203], v[42:45], v[170:173]// 00000000581C: D3B500AA 0EAA55C8
	v_cndmask_b32_e64 v16, v16, 0, s[36:37]                    // 000000005824: D1000010 00910110
	v_mov_b32_e32 v2, v29                                      // 00000000582C: 7E04031D
	v_mfma_f32_16x16x32_bf16 v[174:177], a[204:207], v[42:45], v[174:177]// 000000005830: D3B500AE 0EBA55CC
	ds_read_b128 a[128:131], v21 offset:14336                  // 000000005838: DBFE3800 80000015
	ds_read_b128 a[132:135], v21 offset:15360                  // 000000005840: DBFE3C00 84000015
	ds_read_b128 a[136:139], v21 offset:16384                  // 000000005848: DBFE4000 88000015
	ds_read_b128 a[140:143], v21 offset:17408                  // 000000005850: DBFE4400 8C000015
	s_waitcnt lgkmcnt(0)                                       // 000000005858: BF8CC07F
	v_mfma_f32_16x16x32_bf16 v[42:45], a[72:75], a[0:3], 0     // 00000000585C: D3B5002A 1A020148
	buffer_load_dword v23, v26, s[24:27], 0 offen              // 000000005864: E0501000 8006171A
	v_mul_f32_e32 v29, s5, v29                                 // 00000000586C: 0A3A3A05
	s_mov_b32 s56, 0xb000                                      // 000000005870: BEB800FF 0000B000
	s_mul_i32 s57, s7, 0x2400                                  // 000000005878: 9239FF07 00002400
	s_add_u32 m0, s56, s57                                     // 000000005880: 807C3938
	buffer_load_dwordx4 v32, s[20:23], 0 offen lds             // 000000005884: E05D1000 80050020
	s_add_i32 m0, m0, 0x3c0                                    // 00000000588C: 817CFF7C 000003C0
	v_mfma_f32_16x16x32_bf16 v[42:45], a[76:79], a[4:7], v[42:45]// 000000005894: D3B5002A 1CAA094C
	buffer_load_dwordx4 v32, s[20:23], 0 offen offset:64 lds   // 00000000589C: E05D1040 80050020
	s_add_i32 m0, m0, 0x3c0                                    // 0000000058A4: 817CFF7C 000003C0
	v_mfma_f32_16x16x32_bf16 v[42:45], a[80:83], a[8:11], v[42:45]// 0000000058AC: D3B5002A 1CAA1150
	v_mul_f32_e32 v16, s5, v16                                 // 0000000058B4: 0A202005
	v_exp_f32_e32 v16, v16                                     // 0000000058B8: 7E204110
	v_mfma_f32_16x16x32_bf16 v[42:45], a[84:87], a[12:15], v[42:45]// 0000000058BC: D3B5002A 1CAA1954
	v_add_u32_e32 v26, s73, v26                                // 0000000058C4: 68343449
	ds_read_b128 a[72:75], v21 offset:18432                    // 0000000058C8: DBFE4800 48000015
	ds_read_b128 a[76:79], v21 offset:19456                    // 0000000058D0: DBFE4C00 4C000015
	v_fma_f32 v34, v34, s5, -v29                               // 0000000058D8: D1CB0022 84740B22
	v_mfma_f32_16x16x32_bf16 v[42:45], a[88:91], a[16:19], v[42:45]// 0000000058E0: D3B5002A 1CAA2158
	ds_read_b128 a[80:83], v21 offset:20480                    // 0000000058E8: DBFE5000 50000015
	ds_read_b128 a[84:87], v21 offset:21504                    // 0000000058F0: DBFE5400 54000015
	v_fma_f32 v35, v35, s5, -v29                               // 0000000058F8: D1CB0023 84740B23
	v_mfma_f32_16x16x32_bf16 v[42:45], a[92:95], a[20:23], v[42:45]// 000000005900: D3B5002A 1CAA295C
	buffer_load_dwordx4 v32, s[20:23], 0 offen offset:128 lds  // 000000005908: E05D1080 80050020
	s_add_i32 m0, m0, 0x3c0                                    // 000000005910: 817CFF7C 000003C0
	v_mfma_f32_16x16x32_bf16 v[42:45], a[96:99], a[24:27], v[42:45]// 000000005918: D3B5002A 1CAA3160
	v_fma_f32 v36, v36, s5, -v29                               // 000000005920: D1CB0024 84740B24
	v_fma_f32 v37, v37, s5, -v29                               // 000000005928: D1CB0025 84740B25
	v_mfma_f32_16x16x32_bf16 v[42:45], a[100:103], a[28:31], v[42:45]// 000000005930: D3B5002A 1CAA3964
	ds_read_b128 a[88:91], v21 offset:22528                    // 000000005938: DBFE5800 58000015
	ds_read_b128 a[92:95], v21 offset:23552                    // 000000005940: DBFE5C00 5C000015
	v_fma_f32 v38, v38, s5, -v29                               // 000000005948: D1CB0026 84740B26
	v_mfma_f32_16x16x32_bf16 v[42:45], a[104:107], a[32:35], v[42:45]// 000000005950: D3B5002A 1CAA4168
	ds_read_b128 a[96:99], v21 offset:24576                    // 000000005958: DBFE6000 60000015
	ds_read_b128 a[100:103], v21 offset:25600                  // 000000005960: DBFE6400 64000015
	v_fma_f32 v39, v39, s5, -v29                               // 000000005968: D1CB0027 84740B27
	v_mfma_f32_16x16x32_bf16 v[42:45], a[108:111], a[36:39], v[42:45]// 000000005970: D3B5002A 1CAA496C
	buffer_load_dwordx4 v32, s[20:23], 0 offen offset:192 lds  // 000000005978: E05D10C0 80050020
	s_add_i32 m0, m0, 0x3c0                                    // 000000005980: 817CFF7C 000003C0
	v_mfma_f32_16x16x32_bf16 v[42:45], a[112:115], a[40:43], v[42:45]// 000000005988: D3B5002A 1CAA5170
	v_fma_f32 v40, v40, s5, -v29                               // 000000005990: D1CB0028 84740B28
	v_fma_f32 v41, v41, s5, -v29                               // 000000005998: D1CB0029 84740B29
	v_mfma_f32_16x16x32_bf16 v[42:45], a[116:119], a[44:47], v[42:45]// 0000000059A0: D3B5002A 1CAA5974
	v_exp_f32_e32 v34, v34                                     // 0000000059A8: 7E444122
	v_mfma_f32_16x16x32_bf16 v[42:45], a[120:123], a[48:51], v[42:45]// 0000000059AC: D3B5002A 1CAA6178
	ds_read_b128 a[104:107], v21 offset:26624                  // 0000000059B4: DBFE6800 68000015
	ds_read_b128 a[108:111], v21 offset:27648                  // 0000000059BC: DBFE6C00 6C000015
	v_exp_f32_e32 v35, v35                                     // 0000000059C4: 7E464123
	v_mfma_f32_16x16x32_bf16 v[42:45], a[124:127], a[52:55], v[42:45]// 0000000059C8: D3B5002A 1CAA697C
	buffer_load_dwordx4 v32, s[20:23], 0 offen offset:256 lds  // 0000000059D0: E05D1100 80050020
	s_add_i32 m0, m0, 0x3c0                                    // 0000000059D8: 817CFF7C 000003C0
	v_mfma_f32_16x16x32_bf16 v[42:45], a[128:131], a[56:59], v[42:45]// 0000000059E0: D3B5002A 1CAA7180
	v_exp_f32_e32 v36, v36                                     // 0000000059E8: 7E484124
	v_mfma_f32_16x16x32_bf16 v[42:45], a[132:135], a[60:63], v[42:45]// 0000000059EC: D3B5002A 1CAA7984
	ds_read_b128 a[112:115], v21 offset:28672                  // 0000000059F4: DBFE7000 70000015
	ds_read_b128 a[116:119], v21 offset:29696                  // 0000000059FC: DBFE7400 74000015
	v_exp_f32_e32 v37, v37                                     // 000000005A04: 7E4A4125
	v_mfma_f32_16x16x32_bf16 v[42:45], a[136:139], a[64:67], v[42:45]// 000000005A08: D3B5002A 1CAA8188
	ds_read_b128 a[120:123], v21 offset:30720                  // 000000005A10: DBFE7800 78000015
	ds_read_b128 a[124:127], v21 offset:31744                  // 000000005A18: DBFE7C00 7C000015
	v_exp_f32_e32 v38, v38                                     // 000000005A20: 7E4C4126
	v_mfma_f32_16x16x32_bf16 v[42:45], a[140:143], a[68:71], v[42:45]// 000000005A24: D3B5002A 1CAA898C
	ds_read_b128 a[128:131], v21 offset:32768                  // 000000005A2C: DBFE8000 80000015
	ds_read_b128 a[132:135], v21 offset:33792                  // 000000005A34: DBFE8400 84000015
	v_exp_f32_e32 v39, v39                                     // 000000005A3C: 7E4E4127
	ds_read_b128 a[136:139], v21 offset:34816                  // 000000005A40: DBFE8800 88000015
	ds_read_b128 a[140:143], v21 offset:35840                  // 000000005A48: DBFE8C00 8C000015
	v_exp_f32_e32 v40, v40                                     // 000000005A50: 7E504128
	v_exp_f32_e32 v41, v41                                     // 000000005A54: 7E524129
	v_mul_f32_e32 v4, v16, v4                                  // 000000005A58: 0A080910
	v_mov_b32_e32 v28, v34                                     // 000000005A5C: 7E380322
	v_add_f32_e32 v28, v35, v28                                // 000000005A60: 02383923
	v_add_f32_e32 v28, v36, v28                                // 000000005A64: 02383924
	v_add_f32_e32 v28, v37, v28                                // 000000005A68: 02383925
	v_add_f32_e32 v28, v38, v28                                // 000000005A6C: 02383926
	v_add_f32_e32 v28, v39, v28                                // 000000005A70: 02383927
	v_add_f32_e32 v28, v40, v28                                // 000000005A74: 02383928
	v_add_f32_e32 v28, v41, v28                                // 000000005A78: 02383929
	v_add_f32_e32 v4, v28, v4                                  // 000000005A7C: 0208091C
	v_cvt_pk_bf16_f32 v34, v34, v35                            // 000000005A80: D2680022 00024722
	v_cvt_pk_bf16_f32 v35, v36, v37                            // 000000005A88: D2680023 00024B24
	v_cvt_pk_bf16_f32 v36, v38, v39                            // 000000005A90: D2680024 00024F26
	v_cvt_pk_bf16_f32 v37, v40, v41                            // 000000005A98: D2680025 00025328
	s_nop 0                                                    // 000000005AA0: BF800000
	v_permlane32_swap_b32_e32 v34, v36                         // 000000005AA4: 7E44B524
	v_permlane32_swap_b32_e32 v35, v37                         // 000000005AA8: 7E46B525
	s_nop 0                                                    // 000000005AAC: BF800000
	v_permlane16_swap_b32_e32 v34, v36                         // 000000005AB0: 7E44B324
	v_permlane16_swap_b32_e32 v35, v37                         // 000000005AB4: 7E46B325
	s_waitcnt lgkmcnt(0)                                       // 000000005AB8: BF8CC07F
	v_mfma_f32_16x16x32_bf16 v[46:49], a[72:75], a[0:3], 0     // 000000005ABC: D3B5002E 1A020148
	v_mul_f32_e32 v50, v16, v50                                // 000000005AC4: 0A646510
	v_mul_f32_e32 v51, v16, v51                                // 000000005AC8: 0A666710
	ds_read_b64_tr_b16 a[144:145], v12                         // 000000005ACC: DBC60000 9000000C
	ds_read_b64_tr_b16 a[146:147], v12 offset:256              // 000000005AD4: DBC60100 9200000C
	v_mfma_f32_16x16x32_bf16 v[46:49], a[76:79], a[4:7], v[46:49]// 000000005ADC: D3B5002E 1CBA094C
	buffer_load_dwordx4 v32, s[20:23], 0 offen offset:320 lds  // 000000005AE4: E05D1140 80050020
	s_add_i32 m0, m0, 0x3c0                                    // 000000005AEC: 817CFF7C 000003C0
	v_mul_f32_e32 v52, v16, v52                                // 000000005AF4: 0A686910
	v_mul_f32_e32 v53, v16, v53                                // 000000005AF8: 0A6A6B10
	v_mfma_f32_16x16x32_bf16 v[46:49], a[80:83], a[8:11], v[46:49]// 000000005AFC: D3B5002E 1CBA1150
	v_mul_f32_e32 v54, v16, v54                                // 000000005B04: 0A6C6D10
	v_mul_f32_e32 v55, v16, v55                                // 000000005B08: 0A6E6F10
	ds_read_b64_tr_b16 a[148:149], v13                         // 000000005B0C: DBC60000 9400000D
	ds_read_b64_tr_b16 a[150:151], v13 offset:256              // 000000005B14: DBC60100 9600000D
	v_mfma_f32_16x16x32_bf16 v[46:49], a[84:87], a[12:15], v[46:49]// 000000005B1C: D3B5002E 1CBA1954
	v_mul_f32_e32 v56, v16, v56                                // 000000005B24: 0A707110
	v_mul_f32_e32 v57, v16, v57                                // 000000005B28: 0A727310
	ds_read_b64_tr_b16 a[152:153], v12 offset:1024             // 000000005B2C: DBC60400 9800000C
	ds_read_b64_tr_b16 a[154:155], v12 offset:1280             // 000000005B34: DBC60500 9A00000C
	v_mfma_f32_16x16x32_bf16 v[46:49], a[88:91], a[16:19], v[46:49]// 000000005B3C: D3B5002E 1CBA2158
	v_mul_f32_e32 v58, v16, v58                                // 000000005B44: 0A747510
	v_mul_f32_e32 v59, v16, v59                                // 000000005B48: 0A767710
	ds_read_b64_tr_b16 a[156:157], v13 offset:1024             // 000000005B4C: DBC60400 9C00000D
	ds_read_b64_tr_b16 a[158:159], v13 offset:1280             // 000000005B54: DBC60500 9E00000D
	v_mfma_f32_16x16x32_bf16 v[46:49], a[92:95], a[20:23], v[46:49]// 000000005B5C: D3B5002E 1CBA295C
	v_mul_f32_e32 v60, v16, v60                                // 000000005B64: 0A787910
	v_mul_f32_e32 v61, v16, v61                                // 000000005B68: 0A7A7B10
	ds_read_b64_tr_b16 a[160:161], v12 offset:2048             // 000000005B6C: DBC60800 A000000C
	ds_read_b64_tr_b16 a[162:163], v12 offset:2304             // 000000005B74: DBC60900 A200000C
	v_mfma_f32_16x16x32_bf16 v[46:49], a[96:99], a[24:27], v[46:49]// 000000005B7C: D3B5002E 1CBA3160
	v_mul_f32_e32 v62, v16, v62                                // 000000005B84: 0A7C7D10
	v_mul_f32_e32 v63, v16, v63                                // 000000005B88: 0A7E7F10
	ds_read_b64_tr_b16 a[164:165], v13 offset:2048             // 000000005B8C: DBC60800 A400000D
	ds_read_b64_tr_b16 a[166:167], v13 offset:2304             // 000000005B94: DBC60900 A600000D
	v_mfma_f32_16x16x32_bf16 v[46:49], a[100:103], a[28:31], v[46:49]// 000000005B9C: D3B5002E 1CBA3964
	buffer_load_dwordx4 v32, s[20:23], 0 offen offset:384 lds  // 000000005BA4: E05D1180 80050020
	s_add_i32 m0, m0, 0x3c0                                    // 000000005BAC: 817CFF7C 000003C0
	v_mfma_f32_16x16x32_bf16 v[46:49], a[104:107], a[32:35], v[46:49]// 000000005BB4: D3B5002E 1CBA4168
	v_mul_f32_e32 v64, v16, v64                                // 000000005BBC: 0A808110
	v_mul_f32_e32 v65, v16, v65                                // 000000005BC0: 0A828310
	ds_read_b64_tr_b16 a[168:169], v12 offset:3072             // 000000005BC4: DBC60C00 A800000C
	ds_read_b64_tr_b16 a[170:171], v12 offset:3328             // 000000005BCC: DBC60D00 AA00000C
	v_mfma_f32_16x16x32_bf16 v[46:49], a[108:111], a[36:39], v[46:49]// 000000005BD4: D3B5002E 1CBA496C
	v_mul_f32_e32 v66, v16, v66                                // 000000005BDC: 0A848510
	v_mul_f32_e32 v67, v16, v67                                // 000000005BE0: 0A868710
	ds_read_b64_tr_b16 a[172:173], v13 offset:3072             // 000000005BE4: DBC60C00 AC00000D
	ds_read_b64_tr_b16 a[174:175], v13 offset:3328             // 000000005BEC: DBC60D00 AE00000D
	v_mfma_f32_16x16x32_bf16 v[46:49], a[112:115], a[40:43], v[46:49]// 000000005BF4: D3B5002E 1CBA5170
	v_mul_f32_e32 v68, v16, v68                                // 000000005BFC: 0A888910
	v_mul_f32_e32 v69, v16, v69                                // 000000005C00: 0A8A8B10
	ds_read_b64_tr_b16 a[176:177], v12 offset:4096             // 000000005C04: DBC61000 B000000C
	ds_read_b64_tr_b16 a[178:179], v12 offset:4352             // 000000005C0C: DBC61100 B200000C
	v_mfma_f32_16x16x32_bf16 v[46:49], a[116:119], a[44:47], v[46:49]// 000000005C14: D3B5002E 1CBA5974
	buffer_load_dwordx4 v32, s[20:23], 0 offen offset:448 lds  // 000000005C1C: E05D11C0 80050020
	s_add_i32 m0, m0, 0x3c0                                    // 000000005C24: 817CFF7C 000003C0
	v_mul_f32_e32 v70, v16, v70                                // 000000005C2C: 0A8C8D10
	v_mul_f32_e32 v71, v16, v71                                // 000000005C30: 0A8E8F10
	v_mfma_f32_16x16x32_bf16 v[46:49], a[120:123], a[48:51], v[46:49]// 000000005C34: D3B5002E 1CBA6178
	v_mul_f32_e32 v72, v16, v72                                // 000000005C3C: 0A909110
	v_mul_f32_e32 v73, v16, v73                                // 000000005C40: 0A929310
	ds_read_b64_tr_b16 a[180:181], v13 offset:4096             // 000000005C44: DBC61000 B400000D
	ds_read_b64_tr_b16 a[182:183], v13 offset:4352             // 000000005C4C: DBC61100 B600000D
	v_mfma_f32_16x16x32_bf16 v[46:49], a[124:127], a[52:55], v[46:49]// 000000005C54: D3B5002E 1CBA697C
	v_mul_f32_e32 v74, v16, v74                                // 000000005C5C: 0A949510
	v_mul_f32_e32 v75, v16, v75                                // 000000005C60: 0A969710
	ds_read_b64_tr_b16 a[184:185], v12 offset:5120             // 000000005C64: DBC61400 B800000C
	ds_read_b64_tr_b16 a[186:187], v12 offset:5376             // 000000005C6C: DBC61500 BA00000C
	v_mfma_f32_16x16x32_bf16 v[46:49], a[128:131], a[56:59], v[46:49]// 000000005C74: D3B5002E 1CBA7180
	v_mul_f32_e32 v76, v16, v76                                // 000000005C7C: 0A989910
	v_mul_f32_e32 v77, v16, v77                                // 000000005C80: 0A9A9B10
	ds_read_b64_tr_b16 a[188:189], v13 offset:5120             // 000000005C84: DBC61400 BC00000D
	ds_read_b64_tr_b16 a[190:191], v13 offset:5376             // 000000005C8C: DBC61500 BE00000D
	v_mfma_f32_16x16x32_bf16 v[46:49], a[132:135], a[60:63], v[46:49]// 000000005C94: D3B5002E 1CBA7984
	buffer_load_dwordx4 v32, s[20:23], 0 offen offset:512 lds  // 000000005C9C: E05D1200 80050020
	s_add_i32 m0, m0, 0x3c0                                    // 000000005CA4: 817CFF7C 000003C0
	v_mfma_f32_16x16x32_bf16 v[46:49], a[136:139], a[64:67], v[46:49]// 000000005CAC: D3B5002E 1CBA8188
	v_mul_f32_e32 v78, v16, v78                                // 000000005CB4: 0A9C9D10
	v_mul_f32_e32 v79, v16, v79                                // 000000005CB8: 0A9E9F10
	ds_read_b64_tr_b16 a[192:193], v12 offset:6144             // 000000005CBC: DBC61800 C000000C
	ds_read_b64_tr_b16 a[194:195], v12 offset:6400             // 000000005CC4: DBC61900 C200000C
	ds_read_b64_tr_b16 a[196:197], v13 offset:6144             // 000000005CCC: DBC61800 C400000D
	ds_read_b64_tr_b16 a[198:199], v13 offset:6400             // 000000005CD4: DBC61900 C600000D
	ds_read_b64_tr_b16 a[200:201], v12 offset:7168             // 000000005CDC: DBC61C00 C800000C
	ds_read_b64_tr_b16 a[202:203], v12 offset:7424             // 000000005CE4: DBC61D00 CA00000C
	ds_read_b64_tr_b16 a[204:205], v13 offset:7168             // 000000005CEC: DBC61C00 CC00000D
	ds_read_b64_tr_b16 a[206:207], v13 offset:7424             // 000000005CF4: DBC61D00 CE00000D
	v_mov_b32_e32 v30, v16                                     // 000000005CFC: 7E3C0310
	v_mov_b32_e32 v31, v16                                     // 000000005D00: 7E3E0310
	v_pk_mul_f32 v[80:81], v[30:31], v[80:81]                  // 000000005D04: D3B14050 1802A11E
	v_pk_mul_f32 v[82:83], v[30:31], v[82:83]                  // 000000005D0C: D3B14052 1802A51E
	v_pk_mul_f32 v[84:85], v[30:31], v[84:85]                  // 000000005D14: D3B14054 1802A91E
	v_pk_mul_f32 v[86:87], v[30:31], v[86:87]                  // 000000005D1C: D3B14056 1802AD1E
	v_pk_mul_f32 v[88:89], v[30:31], v[88:89]                  // 000000005D24: D3B14058 1802B11E
	v_pk_mul_f32 v[90:91], v[30:31], v[90:91]                  // 000000005D2C: D3B1405A 1802B51E
	v_pk_mul_f32 v[92:93], v[30:31], v[92:93]                  // 000000005D34: D3B1405C 1802B91E
	v_pk_mul_f32 v[94:95], v[30:31], v[94:95]                  // 000000005D3C: D3B1405E 1802BD1E
	v_pk_mul_f32 v[96:97], v[30:31], v[96:97]                  // 000000005D44: D3B14060 1802C11E
	v_pk_mul_f32 v[98:99], v[30:31], v[98:99]                  // 000000005D4C: D3B14062 1802C51E
	v_pk_mul_f32 v[100:101], v[30:31], v[100:101]              // 000000005D54: D3B14064 1802C91E
	v_pk_mul_f32 v[102:103], v[30:31], v[102:103]              // 000000005D5C: D3B14066 1802CD1E
	v_pk_mul_f32 v[104:105], v[30:31], v[104:105]              // 000000005D64: D3B14068 1802D11E
	v_pk_mul_f32 v[106:107], v[30:31], v[106:107]              // 000000005D6C: D3B1406A 1802D51E
	v_pk_mul_f32 v[108:109], v[30:31], v[108:109]              // 000000005D74: D3B1406C 1802D91E
	v_pk_mul_f32 v[110:111], v[30:31], v[110:111]              // 000000005D7C: D3B1406E 1802DD1E
	v_pk_mul_f32 v[112:113], v[30:31], v[112:113]              // 000000005D84: D3B14070 1802E11E
	v_pk_mul_f32 v[114:115], v[30:31], v[114:115]              // 000000005D8C: D3B14072 1802E51E
	v_pk_mul_f32 v[116:117], v[30:31], v[116:117]              // 000000005D94: D3B14074 1802E91E
	v_pk_mul_f32 v[118:119], v[30:31], v[118:119]              // 000000005D9C: D3B14076 1802ED1E
	v_pk_mul_f32 v[120:121], v[30:31], v[120:121]              // 000000005DA4: D3B14078 1802F11E
	v_pk_mul_f32 v[122:123], v[30:31], v[122:123]              // 000000005DAC: D3B1407A 1802F51E
	v_pk_mul_f32 v[124:125], v[30:31], v[124:125]              // 000000005DB4: D3B1407C 1802F91E
	v_pk_mul_f32 v[126:127], v[30:31], v[126:127]              // 000000005DBC: D3B1407E 1802FD1E
	v_pk_mul_f32 v[128:129], v[30:31], v[128:129]              // 000000005DC4: D3B14080 1803011E
	v_pk_mul_f32 v[130:131], v[30:31], v[130:131]              // 000000005DCC: D3B14082 1803051E
	v_pk_mul_f32 v[132:133], v[30:31], v[132:133]              // 000000005DD4: D3B14084 1803091E
	v_pk_mul_f32 v[134:135], v[30:31], v[134:135]              // 000000005DDC: D3B14086 18030D1E
	v_pk_mul_f32 v[136:137], v[30:31], v[136:137]              // 000000005DE4: D3B14088 1803111E
	v_pk_mul_f32 v[138:139], v[30:31], v[138:139]              // 000000005DEC: D3B1408A 1803151E
	v_pk_mul_f32 v[140:141], v[30:31], v[140:141]              // 000000005DF4: D3B1408C 1803191E
	v_pk_mul_f32 v[142:143], v[30:31], v[142:143]              // 000000005DFC: D3B1408E 18031D1E
	v_pk_mul_f32 v[144:145], v[30:31], v[144:145]              // 000000005E04: D3B14090 1803211E
	v_pk_mul_f32 v[146:147], v[30:31], v[146:147]              // 000000005E0C: D3B14092 1803251E
	v_pk_mul_f32 v[148:149], v[30:31], v[148:149]              // 000000005E14: D3B14094 1803291E
	v_pk_mul_f32 v[150:151], v[30:31], v[150:151]              // 000000005E1C: D3B14096 18032D1E
	v_pk_mul_f32 v[152:153], v[30:31], v[152:153]              // 000000005E24: D3B14098 1803311E
	v_pk_mul_f32 v[154:155], v[30:31], v[154:155]              // 000000005E2C: D3B1409A 1803351E
	v_pk_mul_f32 v[156:157], v[30:31], v[156:157]              // 000000005E34: D3B1409C 1803391E
	v_pk_mul_f32 v[158:159], v[30:31], v[158:159]              // 000000005E3C: D3B1409E 18033D1E
	v_pk_mul_f32 v[160:161], v[30:31], v[160:161]              // 000000005E44: D3B140A0 1803411E
	v_pk_mul_f32 v[162:163], v[30:31], v[162:163]              // 000000005E4C: D3B140A2 1803451E
	v_pk_mul_f32 v[164:165], v[30:31], v[164:165]              // 000000005E54: D3B140A4 1803491E
	v_pk_mul_f32 v[166:167], v[30:31], v[166:167]              // 000000005E5C: D3B140A6 18034D1E
	v_pk_mul_f32 v[168:169], v[30:31], v[168:169]              // 000000005E64: D3B140A8 1803511E
	v_pk_mul_f32 v[170:171], v[30:31], v[170:171]              // 000000005E6C: D3B140AA 1803551E
	v_pk_mul_f32 v[172:173], v[30:31], v[172:173]              // 000000005E74: D3B140AC 1803591E
	v_pk_mul_f32 v[174:175], v[30:31], v[174:175]              // 000000005E7C: D3B140AE 18035D1E
	v_pk_mul_f32 v[176:177], v[30:31], v[176:177]              // 000000005E84: D3B140B0 1803611E
	v_mfma_f32_16x16x32_bf16 v[46:49], a[140:143], a[68:71], v[46:49]// 000000005E8C: D3B5002E 1CBA898C
	s_addk_i32 s70, 0x1                                        // 000000005E94: B7460001
	s_cmp_lt_i32 s70, s71                                      // 000000005E98: BF044746
	s_cbranch_scc0 label_39A4                                  // 000000005E9C: BF840001
	s_branch label_13E0                                        // 000000005EA0: BF82F68F

0000000000005ea4 <label_39A4>:
	s_nop 0                                                    // 000000005EA4: BF800000
	s_nop 0                                                    // 000000005EA8: BF800000
	s_branch label_627C                                        // 000000005EAC: BF820A33

0000000000005eb0 <label_39B0>:
	s_waitcnt lgkmcnt(0)                                       // 000000005EB0: BF8CC07F
	v_mul_u32_u24_e64 v32, v22, s68                            // 000000005EB4: D1080020 00008916
	v_add_u32_e32 v32, v32, v1                                 // 000000005EBC: 68400320
	v_mfma_f32_16x16x32_bf16 v[50:53], a[144:147], v[34:37], v[50:53]// 000000005EC0: D3B50032 0CCA4590
	v_mov_b32_e32 v29, v42                                     // 000000005EC8: 7E3A032A
	v_max3_f32 v29, v42, v43, v29                              // 000000005ECC: D1D3001D 0476572A
	v_mfma_f32_16x16x32_bf16 v[54:57], a[148:151], v[34:37], v[54:57]// 000000005ED4: D3B50036 0CDA4594
	ds_read_b64_tr_b16 a[144:145], v12 offset:8192             // 000000005EDC: DBC62000 9000000C
	ds_read_b64_tr_b16 a[146:147], v12 offset:8448             // 000000005EE4: DBC62100 9200000C
	v_mfma_f32_16x16x32_bf16 v[58:61], a[152:155], v[34:37], v[58:61]// 000000005EEC: D3B5003A 0CEA4598
	v_max3_f32 v29, v44, v45, v29                              // 000000005EF4: D1D3001D 04765B2C
	v_max3_f32 v29, v46, v47, v29                              // 000000005EFC: D1D3001D 04765F2E
	v_mfma_f32_16x16x32_bf16 v[62:65], a[156:159], v[34:37], v[62:65]// 000000005F04: D3B5003E 0CFA459C
	ds_read_b64_tr_b16 a[148:149], v13 offset:8192             // 000000005F0C: DBC62000 9400000D
	ds_read_b64_tr_b16 a[150:151], v13 offset:8448             // 000000005F14: DBC62100 9600000D
	v_mfma_f32_16x16x32_bf16 v[66:69], a[160:163], v[34:37], v[66:69]// 000000005F1C: D3B50042 0D0A45A0
	v_max3_f32 v29, v48, v49, v29                              // 000000005F24: D1D3001D 04766330
	v_mov_b32_e32 v28, v29                                     // 000000005F2C: 7E38031D
	v_mfma_f32_16x16x32_bf16 v[70:73], a[164:167], v[34:37], v[70:73]// 000000005F30: D3B50046 0D1A45A4
	ds_read_b64_tr_b16 a[152:153], v12 offset:9216             // 000000005F38: DBC62400 9800000C
	ds_read_b64_tr_b16 a[154:155], v12 offset:9472             // 000000005F40: DBC62500 9A00000C
	v_mfma_f32_16x16x32_bf16 v[74:77], a[168:171], v[34:37], v[74:77]// 000000005F48: D3B5004A 0D2A45A8
	v_mov_b32_e32 v29, v29                                     // 000000005F50: 7E3A031D
	s_nop 1                                                    // 000000005F54: BF800001
	v_mfma_f32_16x16x32_bf16 v[78:81], a[172:175], v[34:37], v[78:81]// 000000005F58: D3B5004E 0D3A45AC
	ds_read_b64_tr_b16 a[156:157], v13 offset:9216             // 000000005F60: DBC62400 9C00000D
	ds_read_b64_tr_b16 a[158:159], v13 offset:9472             // 000000005F68: DBC62500 9E00000D
	v_mfma_f32_16x16x32_bf16 v[82:85], a[176:179], v[34:37], v[82:85]// 000000005F70: D3B50052 0D4A45B0
	v_permlane16_swap_b32_e32 v28, v29                         // 000000005F78: 7E38B31D
	v_mfma_f32_16x16x32_bf16 v[86:89], a[180:183], v[34:37], v[86:89]// 000000005F7C: D3B50056 0D5A45B4
	ds_read_b64_tr_b16 a[160:161], v12 offset:10240            // 000000005F84: DBC62800 A000000C
	ds_read_b64_tr_b16 a[162:163], v12 offset:10496            // 000000005F8C: DBC62900 A200000C
	v_mfma_f32_16x16x32_bf16 v[90:93], a[184:187], v[34:37], v[90:93]// 000000005F94: D3B5005A 0D6A45B8
	v_mov_b32_e32 v31, v28                                     // 000000005F9C: 7E3E031C
	v_mov_b32_e32 v30, v29                                     // 000000005FA0: 7E3C031D
	v_mfma_f32_16x16x32_bf16 v[94:97], a[188:191], v[34:37], v[94:97]// 000000005FA4: D3B5005E 0D7A45BC
	ds_read_b64_tr_b16 a[164:165], v13 offset:10240            // 000000005FAC: DBC62800 A400000D
	ds_read_b64_tr_b16 a[166:167], v13 offset:10496            // 000000005FB4: DBC62900 A600000D
	v_mfma_f32_16x16x32_bf16 v[98:101], a[192:195], v[34:37], v[98:101]// 000000005FBC: D3B50062 0D8A45C0
	s_nop 1                                                    // 000000005FC4: BF800001
	v_permlane32_swap_b32_e32 v28, v29                         // 000000005FC8: 7E38B51D
	v_mfma_f32_16x16x32_bf16 v[102:105], a[196:199], v[34:37], v[102:105]// 000000005FCC: D3B50066 0D9A45C4
	ds_read_b64_tr_b16 a[168:169], v12 offset:11264            // 000000005FD4: DBC62C00 A800000C
	ds_read_b64_tr_b16 a[170:171], v12 offset:11520            // 000000005FDC: DBC62D00 AA00000C
	v_mfma_f32_16x16x32_bf16 v[106:109], a[200:203], v[34:37], v[106:109]// 000000005FE4: D3B5006A 0DAA45C8
	v_permlane32_swap_b32_e32 v30, v31                         // 000000005FEC: 7E3CB51F
	v_mfma_f32_16x16x32_bf16 v[110:113], a[204:207], v[34:37], v[110:113]// 000000005FF0: D3B5006E 0DBA45CC
	ds_read_b64_tr_b16 a[172:173], v13 offset:11264            // 000000005FF8: DBC62C00 AC00000D
	ds_read_b64_tr_b16 a[174:175], v13 offset:11520            // 000000006000: DBC62D00 AE00000D
	ds_read_b64_tr_b16 a[176:177], v12 offset:12288            // 000000006008: DBC63000 B000000C
	ds_read_b64_tr_b16 a[178:179], v12 offset:12544            // 000000006010: DBC63100 B200000C
	ds_read_b64_tr_b16 a[180:181], v13 offset:12288            // 000000006018: DBC63000 B400000D
	ds_read_b64_tr_b16 a[182:183], v13 offset:12544            // 000000006020: DBC63100 B600000D
	ds_read_b64_tr_b16 a[184:185], v12 offset:13312            // 000000006028: DBC63400 B800000C
	ds_read_b64_tr_b16 a[186:187], v12 offset:13568            // 000000006030: DBC63500 BA00000C
	ds_read_b64_tr_b16 a[188:189], v13 offset:13312            // 000000006038: DBC63400 BC00000D
	ds_read_b64_tr_b16 a[190:191], v13 offset:13568            // 000000006040: DBC63500 BE00000D
	s_waitcnt lgkmcnt(0)                                       // 000000006048: BF8CC07F
	v_mfma_f32_16x16x32_bf16 v[114:117], a[144:147], v[34:37], v[114:117]// 00000000604C: D3B50072 0DCA4590
	ds_read_b64_tr_b16 a[192:193], v12 offset:14336            // 000000006054: DBC63800 C000000C
	ds_read_b64_tr_b16 a[194:195], v12 offset:14592            // 00000000605C: DBC63900 C200000C
	v_mfma_f32_16x16x32_bf16 v[118:121], a[148:151], v[34:37], v[118:121]// 000000006064: D3B50076 0DDA4594
	s_waitcnt vmcnt(10)                                        // 00000000606C: BF8C0F7A
	s_barrier                                                  // 000000006070: BF8A0000
	ds_read_b128 a[72:75], v18                                 // 000000006074: DBFE0000 48000012
	ds_read_b128 a[76:79], v18 offset:1024                     // 00000000607C: DBFE0400 4C000012
	v_mfma_f32_16x16x32_bf16 v[122:125], a[152:155], v[34:37], v[122:125]// 000000006084: D3B5007A 0DEA4598
	ds_read_b64_tr_b16 a[196:197], v13 offset:14336            // 00000000608C: DBC63800 C400000D
	ds_read_b64_tr_b16 a[198:199], v13 offset:14592            // 000000006094: DBC63900 C600000D
	v_mfma_f32_16x16x32_bf16 v[126:129], a[156:159], v[34:37], v[126:129]// 00000000609C: D3B5007E 0DFA459C
	ds_read_b128 a[80:83], v18 offset:2048                     // 0000000060A4: DBFE0800 50000012
	ds_read_b128 a[84:87], v18 offset:3072                     // 0000000060AC: DBFE0C00 54000012
	v_mfma_f32_16x16x32_bf16 v[130:133], a[160:163], v[34:37], v[130:133]// 0000000060B4: D3B50082 0E0A45A0
	ds_read_b64_tr_b16 a[200:201], v12 offset:15360            // 0000000060BC: DBC63C00 C800000C
	ds_read_b64_tr_b16 a[202:203], v12 offset:15616            // 0000000060C4: DBC63D00 CA00000C
	v_mfma_f32_16x16x32_bf16 v[134:137], a[164:167], v[34:37], v[134:137]// 0000000060CC: D3B50086 0E1A45A4
	ds_read_b128 a[88:91], v18 offset:4096                     // 0000000060D4: DBFE1000 58000012
	ds_read_b128 a[92:95], v18 offset:5120                     // 0000000060DC: DBFE1400 5C000012
	v_mfma_f32_16x16x32_bf16 v[138:141], a[168:171], v[34:37], v[138:141]// 0000000060E4: D3B5008A 0E2A45A8
	ds_read_b64_tr_b16 a[204:205], v13 offset:15360            // 0000000060EC: DBC63C00 CC00000D
	ds_read_b64_tr_b16 a[206:207], v13 offset:15616            // 0000000060F4: DBC63D00 CE00000D
	v_mfma_f32_16x16x32_bf16 v[142:145], a[172:175], v[34:37], v[142:145]// 0000000060FC: D3B5008E 0E3A45AC
	ds_read_b128 a[96:99], v18 offset:6144                     // 000000006104: DBFE1800 60000012
	ds_read_b128 a[100:103], v18 offset:7168                   // 00000000610C: DBFE1C00 64000012
	v_mfma_f32_16x16x32_bf16 v[146:149], a[176:179], v[34:37], v[146:149]// 000000006114: D3B50092 0E4A45B0
	v_max3_f32 v29, v28, v29, v29                              // 00000000611C: D1D3001D 04763B1C
	v_max3_f32 v29, v30, v31, v29                              // 000000006124: D1D3001D 04763F1E
	v_mfma_f32_16x16x32_bf16 v[150:153], a[180:183], v[34:37], v[150:153]// 00000000612C: D3B50096 0E5A45B4
	ds_read_b128 a[104:107], v18 offset:8192                   // 000000006134: DBFE2000 68000012
	ds_read_b128 a[108:111], v18 offset:9216                   // 00000000613C: DBFE2400 6C000012
	v_mfma_f32_16x16x32_bf16 v[154:157], a[184:187], v[34:37], v[154:157]// 000000006144: D3B5009A 0E6A45B8
	v_mov_b32_e32 v28, 0xff800000                              // 00000000614C: 7E3802FF FF800000
	v_cmp_eq_u32_e64 s[36:37], v28, v2                         // 000000006154: D0CA0024 0002051C
	v_mfma_f32_16x16x32_bf16 v[158:161], a[188:191], v[34:37], v[158:161]// 00000000615C: D3B5009E 0E7A45BC
	ds_read_b128 a[112:115], v18 offset:10240                  // 000000006164: DBFE2800 70000012
	ds_read_b128 a[116:119], v18 offset:11264                  // 00000000616C: DBFE2C00 74000012
	v_mfma_f32_16x16x32_bf16 v[162:165], a[192:195], v[34:37], v[162:165]// 000000006174: D3B500A2 0E8A45C0
	v_max_f32_e32 v29, v29, v2                                 // 00000000617C: 163A051D
	v_sub_f32_e32 v16, v2, v29                                 // 000000006180: 04203B02
	v_mfma_f32_16x16x32_bf16 v[166:169], a[196:199], v[34:37], v[166:169]// 000000006184: D3B500A6 0E9A45C4
	ds_read_b128 a[120:123], v18 offset:12288                  // 00000000618C: DBFE3000 78000012
	ds_read_b128 a[124:127], v18 offset:13312                  // 000000006194: DBFE3400 7C000012
	v_mfma_f32_16x16x32_bf16 v[170:173], a[200:203], v[34:37], v[170:173]// 00000000619C: D3B500AA 0EAA45C8
	v_cndmask_b32_e64 v16, v16, 0, s[36:37]                    // 0000000061A4: D1000010 00910110
	v_mov_b32_e32 v2, v29                                      // 0000000061AC: 7E04031D
	v_mfma_f32_16x16x32_bf16 v[174:177], a[204:207], v[34:37], v[174:177]// 0000000061B0: D3B500AE 0EBA45CC
	ds_read_b128 a[128:131], v18 offset:14336                  // 0000000061B8: DBFE3800 80000012
	ds_read_b128 a[132:135], v18 offset:15360                  // 0000000061C0: DBFE3C00 84000012
	ds_read_b128 a[136:139], v18 offset:16384                  // 0000000061C8: DBFE4000 88000012
	ds_read_b128 a[140:143], v18 offset:17408                  // 0000000061D0: DBFE4400 8C000012
	s_waitcnt lgkmcnt(0)                                       // 0000000061D8: BF8CC07F
	v_mfma_f32_16x16x32_bf16 v[34:37], a[72:75], a[0:3], 0     // 0000000061DC: D3B50022 1A020148
	buffer_load_dword v24, v26, s[24:27], 0 offen              // 0000000061E4: E0501000 8006181A
	v_mul_f32_e32 v29, s5, v29                                 // 0000000061EC: 0A3A3A05
	s_mov_b32 s56, 0x14000                                     // 0000000061F0: BEB800FF 00014000
	s_mul_i32 s57, s7, 0x2400                                  // 0000000061F8: 9239FF07 00002400
	s_add_u32 m0, s56, s57                                     // 000000006200: 807C3938
	buffer_load_dwordx4 v32, s[20:23], 0 offen lds             // 000000006204: E05D1000 80050020
	s_add_i32 m0, m0, 0x3c0                                    // 00000000620C: 817CFF7C 000003C0
	v_mfma_f32_16x16x32_bf16 v[34:37], a[76:79], a[4:7], v[34:37]// 000000006214: D3B50022 1C8A094C
	buffer_load_dwordx4 v32, s[20:23], 0 offen offset:64 lds   // 00000000621C: E05D1040 80050020
	s_add_i32 m0, m0, 0x3c0                                    // 000000006224: 817CFF7C 000003C0
	v_mfma_f32_16x16x32_bf16 v[34:37], a[80:83], a[8:11], v[34:37]// 00000000622C: D3B50022 1C8A1150
	v_mul_f32_e32 v16, s5, v16                                 // 000000006234: 0A202005
	v_exp_f32_e32 v16, v16                                     // 000000006238: 7E204110
	v_mfma_f32_16x16x32_bf16 v[34:37], a[84:87], a[12:15], v[34:37]// 00000000623C: D3B50022 1C8A1954
	v_add_u32_e32 v26, s73, v26                                // 000000006244: 68343449
	ds_read_b128 a[72:75], v18 offset:18432                    // 000000006248: DBFE4800 48000012
	ds_read_b128 a[76:79], v18 offset:19456                    // 000000006250: DBFE4C00 4C000012
	v_fma_f32 v42, v42, s5, -v29                               // 000000006258: D1CB002A 84740B2A
	v_mfma_f32_16x16x32_bf16 v[34:37], a[88:91], a[16:19], v[34:37]// 000000006260: D3B50022 1C8A2158
	ds_read_b128 a[80:83], v18 offset:20480                    // 000000006268: DBFE5000 50000012
	ds_read_b128 a[84:87], v18 offset:21504                    // 000000006270: DBFE5400 54000012
	v_fma_f32 v43, v43, s5, -v29                               // 000000006278: D1CB002B 84740B2B
	v_mfma_f32_16x16x32_bf16 v[34:37], a[92:95], a[20:23], v[34:37]// 000000006280: D3B50022 1C8A295C
	buffer_load_dwordx4 v32, s[20:23], 0 offen offset:128 lds  // 000000006288: E05D1080 80050020
	s_add_i32 m0, m0, 0x3c0                                    // 000000006290: 817CFF7C 000003C0
	v_mfma_f32_16x16x32_bf16 v[34:37], a[96:99], a[24:27], v[34:37]// 000000006298: D3B50022 1C8A3160
	v_fma_f32 v44, v44, s5, -v29                               // 0000000062A0: D1CB002C 84740B2C
	v_fma_f32 v45, v45, s5, -v29                               // 0000000062A8: D1CB002D 84740B2D
	v_mfma_f32_16x16x32_bf16 v[34:37], a[100:103], a[28:31], v[34:37]// 0000000062B0: D3B50022 1C8A3964
	ds_read_b128 a[88:91], v18 offset:22528                    // 0000000062B8: DBFE5800 58000012
	ds_read_b128 a[92:95], v18 offset:23552                    // 0000000062C0: DBFE5C00 5C000012
	v_fma_f32 v46, v46, s5, -v29                               // 0000000062C8: D1CB002E 84740B2E
	v_mfma_f32_16x16x32_bf16 v[34:37], a[104:107], a[32:35], v[34:37]// 0000000062D0: D3B50022 1C8A4168
	ds_read_b128 a[96:99], v18 offset:24576                    // 0000000062D8: DBFE6000 60000012
	ds_read_b128 a[100:103], v18 offset:25600                  // 0000000062E0: DBFE6400 64000012
	v_fma_f32 v47, v47, s5, -v29                               // 0000000062E8: D1CB002F 84740B2F
	v_mfma_f32_16x16x32_bf16 v[34:37], a[108:111], a[36:39], v[34:37]// 0000000062F0: D3B50022 1C8A496C
	buffer_load_dwordx4 v32, s[20:23], 0 offen offset:192 lds  // 0000000062F8: E05D10C0 80050020
	s_add_i32 m0, m0, 0x3c0                                    // 000000006300: 817CFF7C 000003C0
	v_mfma_f32_16x16x32_bf16 v[34:37], a[112:115], a[40:43], v[34:37]// 000000006308: D3B50022 1C8A5170
	v_fma_f32 v48, v48, s5, -v29                               // 000000006310: D1CB0030 84740B30
	v_fma_f32 v49, v49, s5, -v29                               // 000000006318: D1CB0031 84740B31
	v_mfma_f32_16x16x32_bf16 v[34:37], a[116:119], a[44:47], v[34:37]// 000000006320: D3B50022 1C8A5974
	v_exp_f32_e32 v42, v42                                     // 000000006328: 7E54412A
	v_mfma_f32_16x16x32_bf16 v[34:37], a[120:123], a[48:51], v[34:37]// 00000000632C: D3B50022 1C8A6178
	ds_read_b128 a[104:107], v18 offset:26624                  // 000000006334: DBFE6800 68000012
	ds_read_b128 a[108:111], v18 offset:27648                  // 00000000633C: DBFE6C00 6C000012
	v_exp_f32_e32 v43, v43                                     // 000000006344: 7E56412B
	v_mfma_f32_16x16x32_bf16 v[34:37], a[124:127], a[52:55], v[34:37]// 000000006348: D3B50022 1C8A697C
	buffer_load_dwordx4 v32, s[20:23], 0 offen offset:256 lds  // 000000006350: E05D1100 80050020
	s_add_i32 m0, m0, 0x3c0                                    // 000000006358: 817CFF7C 000003C0
	v_mfma_f32_16x16x32_bf16 v[34:37], a[128:131], a[56:59], v[34:37]// 000000006360: D3B50022 1C8A7180
	v_exp_f32_e32 v44, v44                                     // 000000006368: 7E58412C
	v_mfma_f32_16x16x32_bf16 v[34:37], a[132:135], a[60:63], v[34:37]// 00000000636C: D3B50022 1C8A7984
	ds_read_b128 a[112:115], v18 offset:28672                  // 000000006374: DBFE7000 70000012
	ds_read_b128 a[116:119], v18 offset:29696                  // 00000000637C: DBFE7400 74000012
	v_exp_f32_e32 v45, v45                                     // 000000006384: 7E5A412D
	v_mfma_f32_16x16x32_bf16 v[34:37], a[136:139], a[64:67], v[34:37]// 000000006388: D3B50022 1C8A8188
	ds_read_b128 a[120:123], v18 offset:30720                  // 000000006390: DBFE7800 78000012
	ds_read_b128 a[124:127], v18 offset:31744                  // 000000006398: DBFE7C00 7C000012
	v_exp_f32_e32 v46, v46                                     // 0000000063A0: 7E5C412E
	v_mfma_f32_16x16x32_bf16 v[34:37], a[140:143], a[68:71], v[34:37]// 0000000063A4: D3B50022 1C8A898C
	ds_read_b128 a[128:131], v18 offset:32768                  // 0000000063AC: DBFE8000 80000012
	ds_read_b128 a[132:135], v18 offset:33792                  // 0000000063B4: DBFE8400 84000012
	v_exp_f32_e32 v47, v47                                     // 0000000063BC: 7E5E412F
	ds_read_b128 a[136:139], v18 offset:34816                  // 0000000063C0: DBFE8800 88000012
	ds_read_b128 a[140:143], v18 offset:35840                  // 0000000063C8: DBFE8C00 8C000012
	v_exp_f32_e32 v48, v48                                     // 0000000063D0: 7E604130
	v_exp_f32_e32 v49, v49                                     // 0000000063D4: 7E624131
	v_mul_f32_e32 v4, v16, v4                                  // 0000000063D8: 0A080910
	v_mov_b32_e32 v28, v42                                     // 0000000063DC: 7E38032A
	v_add_f32_e32 v28, v43, v28                                // 0000000063E0: 0238392B
	v_add_f32_e32 v28, v44, v28                                // 0000000063E4: 0238392C
	v_add_f32_e32 v28, v45, v28                                // 0000000063E8: 0238392D
	v_add_f32_e32 v28, v46, v28                                // 0000000063EC: 0238392E
	v_add_f32_e32 v28, v47, v28                                // 0000000063F0: 0238392F
	v_add_f32_e32 v28, v48, v28                                // 0000000063F4: 02383930
	v_add_f32_e32 v28, v49, v28                                // 0000000063F8: 02383931
	v_add_f32_e32 v4, v28, v4                                  // 0000000063FC: 0208091C
	v_cvt_pk_bf16_f32 v42, v42, v43                            // 000000006400: D268002A 0002572A
	v_cvt_pk_bf16_f32 v43, v44, v45                            // 000000006408: D268002B 00025B2C
	v_cvt_pk_bf16_f32 v44, v46, v47                            // 000000006410: D268002C 00025F2E
	v_cvt_pk_bf16_f32 v45, v48, v49                            // 000000006418: D268002D 00026330
	s_nop 0                                                    // 000000006420: BF800000
	v_permlane32_swap_b32_e32 v42, v44                         // 000000006424: 7E54B52C
	v_permlane32_swap_b32_e32 v43, v45                         // 000000006428: 7E56B52D
	s_nop 0                                                    // 00000000642C: BF800000
	v_permlane16_swap_b32_e32 v42, v44                         // 000000006430: 7E54B32C
	v_permlane16_swap_b32_e32 v43, v45                         // 000000006434: 7E56B32D
	s_waitcnt lgkmcnt(0)                                       // 000000006438: BF8CC07F
	v_mfma_f32_16x16x32_bf16 v[38:41], a[72:75], a[0:3], 0     // 00000000643C: D3B50026 1A020148
	v_mul_f32_e32 v50, v16, v50                                // 000000006444: 0A646510
	v_mul_f32_e32 v51, v16, v51                                // 000000006448: 0A666710
	ds_read_b64_tr_b16 a[144:145], v14                         // 00000000644C: DBC60000 9000000E
	ds_read_b64_tr_b16 a[146:147], v14 offset:256              // 000000006454: DBC60100 9200000E
	v_mfma_f32_16x16x32_bf16 v[38:41], a[76:79], a[4:7], v[38:41]// 00000000645C: D3B50026 1C9A094C
	buffer_load_dwordx4 v32, s[20:23], 0 offen offset:320 lds  // 000000006464: E05D1140 80050020
	s_add_i32 m0, m0, 0x3c0                                    // 00000000646C: 817CFF7C 000003C0
	v_mul_f32_e32 v52, v16, v52                                // 000000006474: 0A686910
	v_mul_f32_e32 v53, v16, v53                                // 000000006478: 0A6A6B10
	v_mfma_f32_16x16x32_bf16 v[38:41], a[80:83], a[8:11], v[38:41]// 00000000647C: D3B50026 1C9A1150
	v_mul_f32_e32 v54, v16, v54                                // 000000006484: 0A6C6D10
	v_mul_f32_e32 v55, v16, v55                                // 000000006488: 0A6E6F10
	ds_read_b64_tr_b16 a[148:149], v15                         // 00000000648C: DBC60000 9400000F
	ds_read_b64_tr_b16 a[150:151], v15 offset:256              // 000000006494: DBC60100 9600000F
	v_mfma_f32_16x16x32_bf16 v[38:41], a[84:87], a[12:15], v[38:41]// 00000000649C: D3B50026 1C9A1954
	v_mul_f32_e32 v56, v16, v56                                // 0000000064A4: 0A707110
	v_mul_f32_e32 v57, v16, v57                                // 0000000064A8: 0A727310
	ds_read_b64_tr_b16 a[152:153], v14 offset:1024             // 0000000064AC: DBC60400 9800000E
	ds_read_b64_tr_b16 a[154:155], v14 offset:1280             // 0000000064B4: DBC60500 9A00000E
	v_mfma_f32_16x16x32_bf16 v[38:41], a[88:91], a[16:19], v[38:41]// 0000000064BC: D3B50026 1C9A2158
	v_mul_f32_e32 v58, v16, v58                                // 0000000064C4: 0A747510
	v_mul_f32_e32 v59, v16, v59                                // 0000000064C8: 0A767710
	ds_read_b64_tr_b16 a[156:157], v15 offset:1024             // 0000000064CC: DBC60400 9C00000F
	ds_read_b64_tr_b16 a[158:159], v15 offset:1280             // 0000000064D4: DBC60500 9E00000F
	v_mfma_f32_16x16x32_bf16 v[38:41], a[92:95], a[20:23], v[38:41]// 0000000064DC: D3B50026 1C9A295C
	v_mul_f32_e32 v60, v16, v60                                // 0000000064E4: 0A787910
	v_mul_f32_e32 v61, v16, v61                                // 0000000064E8: 0A7A7B10
	ds_read_b64_tr_b16 a[160:161], v14 offset:2048             // 0000000064EC: DBC60800 A000000E
	ds_read_b64_tr_b16 a[162:163], v14 offset:2304             // 0000000064F4: DBC60900 A200000E
	v_mfma_f32_16x16x32_bf16 v[38:41], a[96:99], a[24:27], v[38:41]// 0000000064FC: D3B50026 1C9A3160
	v_mul_f32_e32 v62, v16, v62                                // 000000006504: 0A7C7D10
	v_mul_f32_e32 v63, v16, v63                                // 000000006508: 0A7E7F10
	ds_read_b64_tr_b16 a[164:165], v15 offset:2048             // 00000000650C: DBC60800 A400000F
	ds_read_b64_tr_b16 a[166:167], v15 offset:2304             // 000000006514: DBC60900 A600000F
	v_mfma_f32_16x16x32_bf16 v[38:41], a[100:103], a[28:31], v[38:41]// 00000000651C: D3B50026 1C9A3964
	buffer_load_dwordx4 v32, s[20:23], 0 offen offset:384 lds  // 000000006524: E05D1180 80050020
	s_add_i32 m0, m0, 0x3c0                                    // 00000000652C: 817CFF7C 000003C0
	v_mfma_f32_16x16x32_bf16 v[38:41], a[104:107], a[32:35], v[38:41]// 000000006534: D3B50026 1C9A4168
	v_mul_f32_e32 v64, v16, v64                                // 00000000653C: 0A808110
	v_mul_f32_e32 v65, v16, v65                                // 000000006540: 0A828310
	ds_read_b64_tr_b16 a[168:169], v14 offset:3072             // 000000006544: DBC60C00 A800000E
	ds_read_b64_tr_b16 a[170:171], v14 offset:3328             // 00000000654C: DBC60D00 AA00000E
	v_mfma_f32_16x16x32_bf16 v[38:41], a[108:111], a[36:39], v[38:41]// 000000006554: D3B50026 1C9A496C
	v_mul_f32_e32 v66, v16, v66                                // 00000000655C: 0A848510
	v_mul_f32_e32 v67, v16, v67                                // 000000006560: 0A868710
	ds_read_b64_tr_b16 a[172:173], v15 offset:3072             // 000000006564: DBC60C00 AC00000F
	ds_read_b64_tr_b16 a[174:175], v15 offset:3328             // 00000000656C: DBC60D00 AE00000F
	v_mfma_f32_16x16x32_bf16 v[38:41], a[112:115], a[40:43], v[38:41]// 000000006574: D3B50026 1C9A5170
	v_mul_f32_e32 v68, v16, v68                                // 00000000657C: 0A888910
	v_mul_f32_e32 v69, v16, v69                                // 000000006580: 0A8A8B10
	ds_read_b64_tr_b16 a[176:177], v14 offset:4096             // 000000006584: DBC61000 B000000E
	ds_read_b64_tr_b16 a[178:179], v14 offset:4352             // 00000000658C: DBC61100 B200000E
	v_mfma_f32_16x16x32_bf16 v[38:41], a[116:119], a[44:47], v[38:41]// 000000006594: D3B50026 1C9A5974
	buffer_load_dwordx4 v32, s[20:23], 0 offen offset:448 lds  // 00000000659C: E05D11C0 80050020
	s_add_i32 m0, m0, 0x3c0                                    // 0000000065A4: 817CFF7C 000003C0
	v_mul_f32_e32 v70, v16, v70                                // 0000000065AC: 0A8C8D10
	v_mul_f32_e32 v71, v16, v71                                // 0000000065B0: 0A8E8F10
	v_mfma_f32_16x16x32_bf16 v[38:41], a[120:123], a[48:51], v[38:41]// 0000000065B4: D3B50026 1C9A6178
	v_mul_f32_e32 v72, v16, v72                                // 0000000065BC: 0A909110
	v_mul_f32_e32 v73, v16, v73                                // 0000000065C0: 0A929310
	ds_read_b64_tr_b16 a[180:181], v15 offset:4096             // 0000000065C4: DBC61000 B400000F
	ds_read_b64_tr_b16 a[182:183], v15 offset:4352             // 0000000065CC: DBC61100 B600000F
	v_mfma_f32_16x16x32_bf16 v[38:41], a[124:127], a[52:55], v[38:41]// 0000000065D4: D3B50026 1C9A697C
	v_mul_f32_e32 v74, v16, v74                                // 0000000065DC: 0A949510
	v_mul_f32_e32 v75, v16, v75                                // 0000000065E0: 0A969710
	ds_read_b64_tr_b16 a[184:185], v14 offset:5120             // 0000000065E4: DBC61400 B800000E
	ds_read_b64_tr_b16 a[186:187], v14 offset:5376             // 0000000065EC: DBC61500 BA00000E
	v_mfma_f32_16x16x32_bf16 v[38:41], a[128:131], a[56:59], v[38:41]// 0000000065F4: D3B50026 1C9A7180
	v_mul_f32_e32 v76, v16, v76                                // 0000000065FC: 0A989910
	v_mul_f32_e32 v77, v16, v77                                // 000000006600: 0A9A9B10
	ds_read_b64_tr_b16 a[188:189], v15 offset:5120             // 000000006604: DBC61400 BC00000F
	ds_read_b64_tr_b16 a[190:191], v15 offset:5376             // 00000000660C: DBC61500 BE00000F
	v_mfma_f32_16x16x32_bf16 v[38:41], a[132:135], a[60:63], v[38:41]// 000000006614: D3B50026 1C9A7984
	buffer_load_dwordx4 v32, s[20:23], 0 offen offset:512 lds  // 00000000661C: E05D1200 80050020
	s_add_i32 m0, m0, 0x3c0                                    // 000000006624: 817CFF7C 000003C0
	v_mfma_f32_16x16x32_bf16 v[38:41], a[136:139], a[64:67], v[38:41]// 00000000662C: D3B50026 1C9A8188
	v_mul_f32_e32 v78, v16, v78                                // 000000006634: 0A9C9D10
	v_mul_f32_e32 v79, v16, v79                                // 000000006638: 0A9E9F10
	ds_read_b64_tr_b16 a[192:193], v14 offset:6144             // 00000000663C: DBC61800 C000000E
	ds_read_b64_tr_b16 a[194:195], v14 offset:6400             // 000000006644: DBC61900 C200000E
	ds_read_b64_tr_b16 a[196:197], v15 offset:6144             // 00000000664C: DBC61800 C400000F
	ds_read_b64_tr_b16 a[198:199], v15 offset:6400             // 000000006654: DBC61900 C600000F
	ds_read_b64_tr_b16 a[200:201], v14 offset:7168             // 00000000665C: DBC61C00 C800000E
	ds_read_b64_tr_b16 a[202:203], v14 offset:7424             // 000000006664: DBC61D00 CA00000E
	ds_read_b64_tr_b16 a[204:205], v15 offset:7168             // 00000000666C: DBC61C00 CC00000F
	ds_read_b64_tr_b16 a[206:207], v15 offset:7424             // 000000006674: DBC61D00 CE00000F
	v_mov_b32_e32 v30, v16                                     // 00000000667C: 7E3C0310
	v_mov_b32_e32 v31, v16                                     // 000000006680: 7E3E0310
	v_pk_mul_f32 v[80:81], v[30:31], v[80:81]                  // 000000006684: D3B14050 1802A11E
	v_pk_mul_f32 v[82:83], v[30:31], v[82:83]                  // 00000000668C: D3B14052 1802A51E
	v_pk_mul_f32 v[84:85], v[30:31], v[84:85]                  // 000000006694: D3B14054 1802A91E
	v_pk_mul_f32 v[86:87], v[30:31], v[86:87]                  // 00000000669C: D3B14056 1802AD1E
	v_pk_mul_f32 v[88:89], v[30:31], v[88:89]                  // 0000000066A4: D3B14058 1802B11E
	v_pk_mul_f32 v[90:91], v[30:31], v[90:91]                  // 0000000066AC: D3B1405A 1802B51E
	v_pk_mul_f32 v[92:93], v[30:31], v[92:93]                  // 0000000066B4: D3B1405C 1802B91E
	v_pk_mul_f32 v[94:95], v[30:31], v[94:95]                  // 0000000066BC: D3B1405E 1802BD1E
	v_pk_mul_f32 v[96:97], v[30:31], v[96:97]                  // 0000000066C4: D3B14060 1802C11E
	v_pk_mul_f32 v[98:99], v[30:31], v[98:99]                  // 0000000066CC: D3B14062 1802C51E
	v_pk_mul_f32 v[100:101], v[30:31], v[100:101]              // 0000000066D4: D3B14064 1802C91E
	v_pk_mul_f32 v[102:103], v[30:31], v[102:103]              // 0000000066DC: D3B14066 1802CD1E
	v_pk_mul_f32 v[104:105], v[30:31], v[104:105]              // 0000000066E4: D3B14068 1802D11E
	v_pk_mul_f32 v[106:107], v[30:31], v[106:107]              // 0000000066EC: D3B1406A 1802D51E
	v_pk_mul_f32 v[108:109], v[30:31], v[108:109]              // 0000000066F4: D3B1406C 1802D91E
	v_pk_mul_f32 v[110:111], v[30:31], v[110:111]              // 0000000066FC: D3B1406E 1802DD1E
	v_pk_mul_f32 v[112:113], v[30:31], v[112:113]              // 000000006704: D3B14070 1802E11E
	v_pk_mul_f32 v[114:115], v[30:31], v[114:115]              // 00000000670C: D3B14072 1802E51E
	v_pk_mul_f32 v[116:117], v[30:31], v[116:117]              // 000000006714: D3B14074 1802E91E
	v_pk_mul_f32 v[118:119], v[30:31], v[118:119]              // 00000000671C: D3B14076 1802ED1E
	v_pk_mul_f32 v[120:121], v[30:31], v[120:121]              // 000000006724: D3B14078 1802F11E
	v_pk_mul_f32 v[122:123], v[30:31], v[122:123]              // 00000000672C: D3B1407A 1802F51E
	v_pk_mul_f32 v[124:125], v[30:31], v[124:125]              // 000000006734: D3B1407C 1802F91E
	v_pk_mul_f32 v[126:127], v[30:31], v[126:127]              // 00000000673C: D3B1407E 1802FD1E
	v_pk_mul_f32 v[128:129], v[30:31], v[128:129]              // 000000006744: D3B14080 1803011E
	v_pk_mul_f32 v[130:131], v[30:31], v[130:131]              // 00000000674C: D3B14082 1803051E
	v_pk_mul_f32 v[132:133], v[30:31], v[132:133]              // 000000006754: D3B14084 1803091E
	v_pk_mul_f32 v[134:135], v[30:31], v[134:135]              // 00000000675C: D3B14086 18030D1E
	v_pk_mul_f32 v[136:137], v[30:31], v[136:137]              // 000000006764: D3B14088 1803111E
	v_pk_mul_f32 v[138:139], v[30:31], v[138:139]              // 00000000676C: D3B1408A 1803151E
	v_pk_mul_f32 v[140:141], v[30:31], v[140:141]              // 000000006774: D3B1408C 1803191E
	v_pk_mul_f32 v[142:143], v[30:31], v[142:143]              // 00000000677C: D3B1408E 18031D1E
	v_pk_mul_f32 v[144:145], v[30:31], v[144:145]              // 000000006784: D3B14090 1803211E
	v_pk_mul_f32 v[146:147], v[30:31], v[146:147]              // 00000000678C: D3B14092 1803251E
	v_pk_mul_f32 v[148:149], v[30:31], v[148:149]              // 000000006794: D3B14094 1803291E
	v_pk_mul_f32 v[150:151], v[30:31], v[150:151]              // 00000000679C: D3B14096 18032D1E
	v_pk_mul_f32 v[152:153], v[30:31], v[152:153]              // 0000000067A4: D3B14098 1803311E
	v_pk_mul_f32 v[154:155], v[30:31], v[154:155]              // 0000000067AC: D3B1409A 1803351E
	v_pk_mul_f32 v[156:157], v[30:31], v[156:157]              // 0000000067B4: D3B1409C 1803391E
	v_pk_mul_f32 v[158:159], v[30:31], v[158:159]              // 0000000067BC: D3B1409E 18033D1E
	v_pk_mul_f32 v[160:161], v[30:31], v[160:161]              // 0000000067C4: D3B140A0 1803411E
	v_pk_mul_f32 v[162:163], v[30:31], v[162:163]              // 0000000067CC: D3B140A2 1803451E
	v_pk_mul_f32 v[164:165], v[30:31], v[164:165]              // 0000000067D4: D3B140A4 1803491E
	v_pk_mul_f32 v[166:167], v[30:31], v[166:167]              // 0000000067DC: D3B140A6 18034D1E
	v_pk_mul_f32 v[168:169], v[30:31], v[168:169]              // 0000000067E4: D3B140A8 1803511E
	v_pk_mul_f32 v[170:171], v[30:31], v[170:171]              // 0000000067EC: D3B140AA 1803551E
	v_pk_mul_f32 v[172:173], v[30:31], v[172:173]              // 0000000067F4: D3B140AC 1803591E
	v_pk_mul_f32 v[174:175], v[30:31], v[174:175]              // 0000000067FC: D3B140AE 18035D1E
	v_pk_mul_f32 v[176:177], v[30:31], v[176:177]              // 000000006804: D3B140B0 1803611E
	v_mfma_f32_16x16x32_bf16 v[38:41], a[140:143], a[68:71], v[38:41]// 00000000680C: D3B50026 1C9A898C
	s_addk_i32 s70, 0x1                                        // 000000006814: B7460001
	s_cmp_lt_i32 s70, s71                                      // 000000006818: BF044746
	s_cbranch_scc0 label_39A4                                  // 00000000681C: BF84FDA1
	s_waitcnt lgkmcnt(0)                                       // 000000006820: BF8CC07F
	v_mul_u32_u24_e64 v32, v23, s68                            // 000000006824: D1080020 00008917
	v_add_u32_e32 v32, v32, v1                                 // 00000000682C: 68400320
	v_mfma_f32_16x16x32_bf16 v[50:53], a[144:147], v[42:45], v[50:53]// 000000006830: D3B50032 0CCA5590
	v_mov_b32_e32 v29, v34                                     // 000000006838: 7E3A0322
	v_max3_f32 v29, v34, v35, v29                              // 00000000683C: D1D3001D 04764722
	v_mfma_f32_16x16x32_bf16 v[54:57], a[148:151], v[42:45], v[54:57]// 000000006844: D3B50036 0CDA5594
	ds_read_b64_tr_b16 a[144:145], v14 offset:8192             // 00000000684C: DBC62000 9000000E
	ds_read_b64_tr_b16 a[146:147], v14 offset:8448             // 000000006854: DBC62100 9200000E
	v_mfma_f32_16x16x32_bf16 v[58:61], a[152:155], v[42:45], v[58:61]// 00000000685C: D3B5003A 0CEA5598
	v_max3_f32 v29, v36, v37, v29                              // 000000006864: D1D3001D 04764B24
	v_max3_f32 v29, v38, v39, v29                              // 00000000686C: D1D3001D 04764F26
	v_mfma_f32_16x16x32_bf16 v[62:65], a[156:159], v[42:45], v[62:65]// 000000006874: D3B5003E 0CFA559C
	ds_read_b64_tr_b16 a[148:149], v15 offset:8192             // 00000000687C: DBC62000 9400000F
	ds_read_b64_tr_b16 a[150:151], v15 offset:8448             // 000000006884: DBC62100 9600000F
	v_mfma_f32_16x16x32_bf16 v[66:69], a[160:163], v[42:45], v[66:69]// 00000000688C: D3B50042 0D0A55A0
	v_max3_f32 v29, v40, v41, v29                              // 000000006894: D1D3001D 04765328
	v_mov_b32_e32 v28, v29                                     // 00000000689C: 7E38031D
	v_mfma_f32_16x16x32_bf16 v[70:73], a[164:167], v[42:45], v[70:73]// 0000000068A0: D3B50046 0D1A55A4
	ds_read_b64_tr_b16 a[152:153], v14 offset:9216             // 0000000068A8: DBC62400 9800000E
	ds_read_b64_tr_b16 a[154:155], v14 offset:9472             // 0000000068B0: DBC62500 9A00000E
	v_mfma_f32_16x16x32_bf16 v[74:77], a[168:171], v[42:45], v[74:77]// 0000000068B8: D3B5004A 0D2A55A8
	v_mov_b32_e32 v29, v29                                     // 0000000068C0: 7E3A031D
	s_nop 1                                                    // 0000000068C4: BF800001
	v_mfma_f32_16x16x32_bf16 v[78:81], a[172:175], v[42:45], v[78:81]// 0000000068C8: D3B5004E 0D3A55AC
	ds_read_b64_tr_b16 a[156:157], v15 offset:9216             // 0000000068D0: DBC62400 9C00000F
	ds_read_b64_tr_b16 a[158:159], v15 offset:9472             // 0000000068D8: DBC62500 9E00000F
	v_mfma_f32_16x16x32_bf16 v[82:85], a[176:179], v[42:45], v[82:85]// 0000000068E0: D3B50052 0D4A55B0
	v_permlane16_swap_b32_e32 v28, v29                         // 0000000068E8: 7E38B31D
	v_mfma_f32_16x16x32_bf16 v[86:89], a[180:183], v[42:45], v[86:89]// 0000000068EC: D3B50056 0D5A55B4
	ds_read_b64_tr_b16 a[160:161], v14 offset:10240            // 0000000068F4: DBC62800 A000000E
	ds_read_b64_tr_b16 a[162:163], v14 offset:10496            // 0000000068FC: DBC62900 A200000E
	v_mfma_f32_16x16x32_bf16 v[90:93], a[184:187], v[42:45], v[90:93]// 000000006904: D3B5005A 0D6A55B8
	v_mov_b32_e32 v31, v28                                     // 00000000690C: 7E3E031C
	v_mov_b32_e32 v30, v29                                     // 000000006910: 7E3C031D
	v_mfma_f32_16x16x32_bf16 v[94:97], a[188:191], v[42:45], v[94:97]// 000000006914: D3B5005E 0D7A55BC
	ds_read_b64_tr_b16 a[164:165], v15 offset:10240            // 00000000691C: DBC62800 A400000F
	ds_read_b64_tr_b16 a[166:167], v15 offset:10496            // 000000006924: DBC62900 A600000F
	v_mfma_f32_16x16x32_bf16 v[98:101], a[192:195], v[42:45], v[98:101]// 00000000692C: D3B50062 0D8A55C0
	s_nop 1                                                    // 000000006934: BF800001
	v_permlane32_swap_b32_e32 v28, v29                         // 000000006938: 7E38B51D
	v_mfma_f32_16x16x32_bf16 v[102:105], a[196:199], v[42:45], v[102:105]// 00000000693C: D3B50066 0D9A55C4
	ds_read_b64_tr_b16 a[168:169], v14 offset:11264            // 000000006944: DBC62C00 A800000E
	ds_read_b64_tr_b16 a[170:171], v14 offset:11520            // 00000000694C: DBC62D00 AA00000E
	v_mfma_f32_16x16x32_bf16 v[106:109], a[200:203], v[42:45], v[106:109]// 000000006954: D3B5006A 0DAA55C8
	v_permlane32_swap_b32_e32 v30, v31                         // 00000000695C: 7E3CB51F
	v_mfma_f32_16x16x32_bf16 v[110:113], a[204:207], v[42:45], v[110:113]// 000000006960: D3B5006E 0DBA55CC
	ds_read_b64_tr_b16 a[172:173], v15 offset:11264            // 000000006968: DBC62C00 AC00000F
	ds_read_b64_tr_b16 a[174:175], v15 offset:11520            // 000000006970: DBC62D00 AE00000F
	ds_read_b64_tr_b16 a[176:177], v14 offset:12288            // 000000006978: DBC63000 B000000E
	ds_read_b64_tr_b16 a[178:179], v14 offset:12544            // 000000006980: DBC63100 B200000E
	ds_read_b64_tr_b16 a[180:181], v15 offset:12288            // 000000006988: DBC63000 B400000F
	ds_read_b64_tr_b16 a[182:183], v15 offset:12544            // 000000006990: DBC63100 B600000F
	ds_read_b64_tr_b16 a[184:185], v14 offset:13312            // 000000006998: DBC63400 B800000E
	ds_read_b64_tr_b16 a[186:187], v14 offset:13568            // 0000000069A0: DBC63500 BA00000E
	ds_read_b64_tr_b16 a[188:189], v15 offset:13312            // 0000000069A8: DBC63400 BC00000F
	ds_read_b64_tr_b16 a[190:191], v15 offset:13568            // 0000000069B0: DBC63500 BE00000F
	s_waitcnt lgkmcnt(0)                                       // 0000000069B8: BF8CC07F
	v_mfma_f32_16x16x32_bf16 v[114:117], a[144:147], v[42:45], v[114:117]// 0000000069BC: D3B50072 0DCA5590
	ds_read_b64_tr_b16 a[192:193], v14 offset:14336            // 0000000069C4: DBC63800 C000000E
	ds_read_b64_tr_b16 a[194:195], v14 offset:14592            // 0000000069CC: DBC63900 C200000E
	v_mfma_f32_16x16x32_bf16 v[118:121], a[148:151], v[42:45], v[118:121]// 0000000069D4: D3B50076 0DDA5594
	s_waitcnt vmcnt(10)                                        // 0000000069DC: BF8C0F7A
	s_barrier                                                  // 0000000069E0: BF8A0000
	ds_read_b128 a[72:75], v19                                 // 0000000069E4: DBFE0000 48000013
	ds_read_b128 a[76:79], v19 offset:1024                     // 0000000069EC: DBFE0400 4C000013
	v_mfma_f32_16x16x32_bf16 v[122:125], a[152:155], v[42:45], v[122:125]// 0000000069F4: D3B5007A 0DEA5598
	ds_read_b64_tr_b16 a[196:197], v15 offset:14336            // 0000000069FC: DBC63800 C400000F
	ds_read_b64_tr_b16 a[198:199], v15 offset:14592            // 000000006A04: DBC63900 C600000F
	v_mfma_f32_16x16x32_bf16 v[126:129], a[156:159], v[42:45], v[126:129]// 000000006A0C: D3B5007E 0DFA559C
	ds_read_b128 a[80:83], v19 offset:2048                     // 000000006A14: DBFE0800 50000013
	ds_read_b128 a[84:87], v19 offset:3072                     // 000000006A1C: DBFE0C00 54000013
	v_mfma_f32_16x16x32_bf16 v[130:133], a[160:163], v[42:45], v[130:133]// 000000006A24: D3B50082 0E0A55A0
	ds_read_b64_tr_b16 a[200:201], v14 offset:15360            // 000000006A2C: DBC63C00 C800000E
	ds_read_b64_tr_b16 a[202:203], v14 offset:15616            // 000000006A34: DBC63D00 CA00000E
	v_mfma_f32_16x16x32_bf16 v[134:137], a[164:167], v[42:45], v[134:137]// 000000006A3C: D3B50086 0E1A55A4
	ds_read_b128 a[88:91], v19 offset:4096                     // 000000006A44: DBFE1000 58000013
	ds_read_b128 a[92:95], v19 offset:5120                     // 000000006A4C: DBFE1400 5C000013
	v_mfma_f32_16x16x32_bf16 v[138:141], a[168:171], v[42:45], v[138:141]// 000000006A54: D3B5008A 0E2A55A8
	ds_read_b64_tr_b16 a[204:205], v15 offset:15360            // 000000006A5C: DBC63C00 CC00000F
	ds_read_b64_tr_b16 a[206:207], v15 offset:15616            // 000000006A64: DBC63D00 CE00000F
	v_mfma_f32_16x16x32_bf16 v[142:145], a[172:175], v[42:45], v[142:145]// 000000006A6C: D3B5008E 0E3A55AC
	ds_read_b128 a[96:99], v19 offset:6144                     // 000000006A74: DBFE1800 60000013
	ds_read_b128 a[100:103], v19 offset:7168                   // 000000006A7C: DBFE1C00 64000013
	v_mfma_f32_16x16x32_bf16 v[146:149], a[176:179], v[42:45], v[146:149]// 000000006A84: D3B50092 0E4A55B0
	v_max3_f32 v29, v28, v29, v29                              // 000000006A8C: D1D3001D 04763B1C
	v_max3_f32 v29, v30, v31, v29                              // 000000006A94: D1D3001D 04763F1E
	v_mfma_f32_16x16x32_bf16 v[150:153], a[180:183], v[42:45], v[150:153]// 000000006A9C: D3B50096 0E5A55B4
	ds_read_b128 a[104:107], v19 offset:8192                   // 000000006AA4: DBFE2000 68000013
	ds_read_b128 a[108:111], v19 offset:9216                   // 000000006AAC: DBFE2400 6C000013
	v_mfma_f32_16x16x32_bf16 v[154:157], a[184:187], v[42:45], v[154:157]// 000000006AB4: D3B5009A 0E6A55B8
	v_mov_b32_e32 v28, 0xff800000                              // 000000006ABC: 7E3802FF FF800000
	v_cmp_eq_u32_e64 s[36:37], v28, v2                         // 000000006AC4: D0CA0024 0002051C
	v_mfma_f32_16x16x32_bf16 v[158:161], a[188:191], v[42:45], v[158:161]// 000000006ACC: D3B5009E 0E7A55BC
	ds_read_b128 a[112:115], v19 offset:10240                  // 000000006AD4: DBFE2800 70000013
	ds_read_b128 a[116:119], v19 offset:11264                  // 000000006ADC: DBFE2C00 74000013
	v_mfma_f32_16x16x32_bf16 v[162:165], a[192:195], v[42:45], v[162:165]// 000000006AE4: D3B500A2 0E8A55C0
	v_max_f32_e32 v29, v29, v2                                 // 000000006AEC: 163A051D
	v_sub_f32_e32 v16, v2, v29                                 // 000000006AF0: 04203B02
	v_mfma_f32_16x16x32_bf16 v[166:169], a[196:199], v[42:45], v[166:169]// 000000006AF4: D3B500A6 0E9A55C4
	ds_read_b128 a[120:123], v19 offset:12288                  // 000000006AFC: DBFE3000 78000013
	ds_read_b128 a[124:127], v19 offset:13312                  // 000000006B04: DBFE3400 7C000013
	v_mfma_f32_16x16x32_bf16 v[170:173], a[200:203], v[42:45], v[170:173]// 000000006B0C: D3B500AA 0EAA55C8
	v_cndmask_b32_e64 v16, v16, 0, s[36:37]                    // 000000006B14: D1000010 00910110
	v_mov_b32_e32 v2, v29                                      // 000000006B1C: 7E04031D
	v_mfma_f32_16x16x32_bf16 v[174:177], a[204:207], v[42:45], v[174:177]// 000000006B20: D3B500AE 0EBA55CC
	ds_read_b128 a[128:131], v19 offset:14336                  // 000000006B28: DBFE3800 80000013
	ds_read_b128 a[132:135], v19 offset:15360                  // 000000006B30: DBFE3C00 84000013
	ds_read_b128 a[136:139], v19 offset:16384                  // 000000006B38: DBFE4000 88000013
	ds_read_b128 a[140:143], v19 offset:17408                  // 000000006B40: DBFE4400 8C000013
	s_waitcnt lgkmcnt(0)                                       // 000000006B48: BF8CC07F
	v_mfma_f32_16x16x32_bf16 v[42:45], a[72:75], a[0:3], 0     // 000000006B4C: D3B5002A 1A020148
	buffer_load_dword v25, v26, s[24:27], 0 offen              // 000000006B54: E0501000 8006191A
	v_mul_f32_e32 v29, s5, v29                                 // 000000006B5C: 0A3A3A05
	s_mov_b32 s56, 0x1d000                                     // 000000006B60: BEB800FF 0001D000
	s_mul_i32 s57, s7, 0x2400                                  // 000000006B68: 9239FF07 00002400
	s_add_u32 m0, s56, s57                                     // 000000006B70: 807C3938
	buffer_load_dwordx4 v32, s[20:23], 0 offen lds             // 000000006B74: E05D1000 80050020
	s_add_i32 m0, m0, 0x3c0                                    // 000000006B7C: 817CFF7C 000003C0
	v_mfma_f32_16x16x32_bf16 v[42:45], a[76:79], a[4:7], v[42:45]// 000000006B84: D3B5002A 1CAA094C
	buffer_load_dwordx4 v32, s[20:23], 0 offen offset:64 lds   // 000000006B8C: E05D1040 80050020
	s_add_i32 m0, m0, 0x3c0                                    // 000000006B94: 817CFF7C 000003C0
	v_mfma_f32_16x16x32_bf16 v[42:45], a[80:83], a[8:11], v[42:45]// 000000006B9C: D3B5002A 1CAA1150
	v_mul_f32_e32 v16, s5, v16                                 // 000000006BA4: 0A202005
	v_exp_f32_e32 v16, v16                                     // 000000006BA8: 7E204110
	v_mfma_f32_16x16x32_bf16 v[42:45], a[84:87], a[12:15], v[42:45]// 000000006BAC: D3B5002A 1CAA1954
	v_add_u32_e32 v26, s73, v26                                // 000000006BB4: 68343449
	ds_read_b128 a[72:75], v19 offset:18432                    // 000000006BB8: DBFE4800 48000013
	ds_read_b128 a[76:79], v19 offset:19456                    // 000000006BC0: DBFE4C00 4C000013
	v_fma_f32 v34, v34, s5, -v29                               // 000000006BC8: D1CB0022 84740B22
	v_mfma_f32_16x16x32_bf16 v[42:45], a[88:91], a[16:19], v[42:45]// 000000006BD0: D3B5002A 1CAA2158
	ds_read_b128 a[80:83], v19 offset:20480                    // 000000006BD8: DBFE5000 50000013
	ds_read_b128 a[84:87], v19 offset:21504                    // 000000006BE0: DBFE5400 54000013
	v_fma_f32 v35, v35, s5, -v29                               // 000000006BE8: D1CB0023 84740B23
	v_mfma_f32_16x16x32_bf16 v[42:45], a[92:95], a[20:23], v[42:45]// 000000006BF0: D3B5002A 1CAA295C
	buffer_load_dwordx4 v32, s[20:23], 0 offen offset:128 lds  // 000000006BF8: E05D1080 80050020
	s_add_i32 m0, m0, 0x3c0                                    // 000000006C00: 817CFF7C 000003C0
	v_mfma_f32_16x16x32_bf16 v[42:45], a[96:99], a[24:27], v[42:45]// 000000006C08: D3B5002A 1CAA3160
	v_fma_f32 v36, v36, s5, -v29                               // 000000006C10: D1CB0024 84740B24
	v_fma_f32 v37, v37, s5, -v29                               // 000000006C18: D1CB0025 84740B25
	v_mfma_f32_16x16x32_bf16 v[42:45], a[100:103], a[28:31], v[42:45]// 000000006C20: D3B5002A 1CAA3964
	ds_read_b128 a[88:91], v19 offset:22528                    // 000000006C28: DBFE5800 58000013
	ds_read_b128 a[92:95], v19 offset:23552                    // 000000006C30: DBFE5C00 5C000013
	v_fma_f32 v38, v38, s5, -v29                               // 000000006C38: D1CB0026 84740B26
	v_mfma_f32_16x16x32_bf16 v[42:45], a[104:107], a[32:35], v[42:45]// 000000006C40: D3B5002A 1CAA4168
	ds_read_b128 a[96:99], v19 offset:24576                    // 000000006C48: DBFE6000 60000013
	ds_read_b128 a[100:103], v19 offset:25600                  // 000000006C50: DBFE6400 64000013
	v_fma_f32 v39, v39, s5, -v29                               // 000000006C58: D1CB0027 84740B27
	v_mfma_f32_16x16x32_bf16 v[42:45], a[108:111], a[36:39], v[42:45]// 000000006C60: D3B5002A 1CAA496C
	buffer_load_dwordx4 v32, s[20:23], 0 offen offset:192 lds  // 000000006C68: E05D10C0 80050020
	s_add_i32 m0, m0, 0x3c0                                    // 000000006C70: 817CFF7C 000003C0
	v_mfma_f32_16x16x32_bf16 v[42:45], a[112:115], a[40:43], v[42:45]// 000000006C78: D3B5002A 1CAA5170
	v_fma_f32 v40, v40, s5, -v29                               // 000000006C80: D1CB0028 84740B28
	v_fma_f32 v41, v41, s5, -v29                               // 000000006C88: D1CB0029 84740B29
	v_mfma_f32_16x16x32_bf16 v[42:45], a[116:119], a[44:47], v[42:45]// 000000006C90: D3B5002A 1CAA5974
	v_exp_f32_e32 v34, v34                                     // 000000006C98: 7E444122
	v_mfma_f32_16x16x32_bf16 v[42:45], a[120:123], a[48:51], v[42:45]// 000000006C9C: D3B5002A 1CAA6178
	ds_read_b128 a[104:107], v19 offset:26624                  // 000000006CA4: DBFE6800 68000013
	ds_read_b128 a[108:111], v19 offset:27648                  // 000000006CAC: DBFE6C00 6C000013
	v_exp_f32_e32 v35, v35                                     // 000000006CB4: 7E464123
	v_mfma_f32_16x16x32_bf16 v[42:45], a[124:127], a[52:55], v[42:45]// 000000006CB8: D3B5002A 1CAA697C
	buffer_load_dwordx4 v32, s[20:23], 0 offen offset:256 lds  // 000000006CC0: E05D1100 80050020
	s_add_i32 m0, m0, 0x3c0                                    // 000000006CC8: 817CFF7C 000003C0
	v_mfma_f32_16x16x32_bf16 v[42:45], a[128:131], a[56:59], v[42:45]// 000000006CD0: D3B5002A 1CAA7180
	v_exp_f32_e32 v36, v36                                     // 000000006CD8: 7E484124
	v_mfma_f32_16x16x32_bf16 v[42:45], a[132:135], a[60:63], v[42:45]// 000000006CDC: D3B5002A 1CAA7984
	ds_read_b128 a[112:115], v19 offset:28672                  // 000000006CE4: DBFE7000 70000013
	ds_read_b128 a[116:119], v19 offset:29696                  // 000000006CEC: DBFE7400 74000013
	v_exp_f32_e32 v37, v37                                     // 000000006CF4: 7E4A4125
	v_mfma_f32_16x16x32_bf16 v[42:45], a[136:139], a[64:67], v[42:45]// 000000006CF8: D3B5002A 1CAA8188
	ds_read_b128 a[120:123], v19 offset:30720                  // 000000006D00: DBFE7800 78000013
	ds_read_b128 a[124:127], v19 offset:31744                  // 000000006D08: DBFE7C00 7C000013
	v_exp_f32_e32 v38, v38                                     // 000000006D10: 7E4C4126
	v_mfma_f32_16x16x32_bf16 v[42:45], a[140:143], a[68:71], v[42:45]// 000000006D14: D3B5002A 1CAA898C
	ds_read_b128 a[128:131], v19 offset:32768                  // 000000006D1C: DBFE8000 80000013
	ds_read_b128 a[132:135], v19 offset:33792                  // 000000006D24: DBFE8400 84000013
	v_exp_f32_e32 v39, v39                                     // 000000006D2C: 7E4E4127
	ds_read_b128 a[136:139], v19 offset:34816                  // 000000006D30: DBFE8800 88000013
	ds_read_b128 a[140:143], v19 offset:35840                  // 000000006D38: DBFE8C00 8C000013
	v_exp_f32_e32 v40, v40                                     // 000000006D40: 7E504128
	v_exp_f32_e32 v41, v41                                     // 000000006D44: 7E524129
	v_mul_f32_e32 v4, v16, v4                                  // 000000006D48: 0A080910
	v_mov_b32_e32 v28, v34                                     // 000000006D4C: 7E380322
	v_add_f32_e32 v28, v35, v28                                // 000000006D50: 02383923
	v_add_f32_e32 v28, v36, v28                                // 000000006D54: 02383924
	v_add_f32_e32 v28, v37, v28                                // 000000006D58: 02383925
	v_add_f32_e32 v28, v38, v28                                // 000000006D5C: 02383926
	v_add_f32_e32 v28, v39, v28                                // 000000006D60: 02383927
	v_add_f32_e32 v28, v40, v28                                // 000000006D64: 02383928
	v_add_f32_e32 v28, v41, v28                                // 000000006D68: 02383929
	v_add_f32_e32 v4, v28, v4                                  // 000000006D6C: 0208091C
	v_cvt_pk_bf16_f32 v34, v34, v35                            // 000000006D70: D2680022 00024722
	v_cvt_pk_bf16_f32 v35, v36, v37                            // 000000006D78: D2680023 00024B24
	v_cvt_pk_bf16_f32 v36, v38, v39                            // 000000006D80: D2680024 00024F26
	v_cvt_pk_bf16_f32 v37, v40, v41                            // 000000006D88: D2680025 00025328
	s_nop 0                                                    // 000000006D90: BF800000
	v_permlane32_swap_b32_e32 v34, v36                         // 000000006D94: 7E44B524
	v_permlane32_swap_b32_e32 v35, v37                         // 000000006D98: 7E46B525
	s_nop 0                                                    // 000000006D9C: BF800000
	v_permlane16_swap_b32_e32 v34, v36                         // 000000006DA0: 7E44B324
	v_permlane16_swap_b32_e32 v35, v37                         // 000000006DA4: 7E46B325
	s_waitcnt lgkmcnt(0)                                       // 000000006DA8: BF8CC07F
	v_mfma_f32_16x16x32_bf16 v[46:49], a[72:75], a[0:3], 0     // 000000006DAC: D3B5002E 1A020148
	v_mul_f32_e32 v50, v16, v50                                // 000000006DB4: 0A646510
	v_mul_f32_e32 v51, v16, v51                                // 000000006DB8: 0A666710
	ds_read_b64_tr_b16 a[144:145], v8                          // 000000006DBC: DBC60000 90000008
	ds_read_b64_tr_b16 a[146:147], v8 offset:256               // 000000006DC4: DBC60100 92000008
	v_mfma_f32_16x16x32_bf16 v[46:49], a[76:79], a[4:7], v[46:49]// 000000006DCC: D3B5002E 1CBA094C
	buffer_load_dwordx4 v32, s[20:23], 0 offen offset:320 lds  // 000000006DD4: E05D1140 80050020
	s_add_i32 m0, m0, 0x3c0                                    // 000000006DDC: 817CFF7C 000003C0
	v_mul_f32_e32 v52, v16, v52                                // 000000006DE4: 0A686910
	v_mul_f32_e32 v53, v16, v53                                // 000000006DE8: 0A6A6B10
	v_mfma_f32_16x16x32_bf16 v[46:49], a[80:83], a[8:11], v[46:49]// 000000006DEC: D3B5002E 1CBA1150
	v_mul_f32_e32 v54, v16, v54                                // 000000006DF4: 0A6C6D10
	v_mul_f32_e32 v55, v16, v55                                // 000000006DF8: 0A6E6F10
	ds_read_b64_tr_b16 a[148:149], v9                          // 000000006DFC: DBC60000 94000009
	ds_read_b64_tr_b16 a[150:151], v9 offset:256               // 000000006E04: DBC60100 96000009
	v_mfma_f32_16x16x32_bf16 v[46:49], a[84:87], a[12:15], v[46:49]// 000000006E0C: D3B5002E 1CBA1954
	v_mul_f32_e32 v56, v16, v56                                // 000000006E14: 0A707110
	v_mul_f32_e32 v57, v16, v57                                // 000000006E18: 0A727310
	ds_read_b64_tr_b16 a[152:153], v8 offset:1024              // 000000006E1C: DBC60400 98000008
	ds_read_b64_tr_b16 a[154:155], v8 offset:1280              // 000000006E24: DBC60500 9A000008
	v_mfma_f32_16x16x32_bf16 v[46:49], a[88:91], a[16:19], v[46:49]// 000000006E2C: D3B5002E 1CBA2158
	v_mul_f32_e32 v58, v16, v58                                // 000000006E34: 0A747510
	v_mul_f32_e32 v59, v16, v59                                // 000000006E38: 0A767710
	ds_read_b64_tr_b16 a[156:157], v9 offset:1024              // 000000006E3C: DBC60400 9C000009
	ds_read_b64_tr_b16 a[158:159], v9 offset:1280              // 000000006E44: DBC60500 9E000009
	v_mfma_f32_16x16x32_bf16 v[46:49], a[92:95], a[20:23], v[46:49]// 000000006E4C: D3B5002E 1CBA295C
	v_mul_f32_e32 v60, v16, v60                                // 000000006E54: 0A787910
	v_mul_f32_e32 v61, v16, v61                                // 000000006E58: 0A7A7B10
	ds_read_b64_tr_b16 a[160:161], v8 offset:2048              // 000000006E5C: DBC60800 A0000008
	ds_read_b64_tr_b16 a[162:163], v8 offset:2304              // 000000006E64: DBC60900 A2000008
	v_mfma_f32_16x16x32_bf16 v[46:49], a[96:99], a[24:27], v[46:49]// 000000006E6C: D3B5002E 1CBA3160
	v_mul_f32_e32 v62, v16, v62                                // 000000006E74: 0A7C7D10
	v_mul_f32_e32 v63, v16, v63                                // 000000006E78: 0A7E7F10
	ds_read_b64_tr_b16 a[164:165], v9 offset:2048              // 000000006E7C: DBC60800 A4000009
	ds_read_b64_tr_b16 a[166:167], v9 offset:2304              // 000000006E84: DBC60900 A6000009
	v_mfma_f32_16x16x32_bf16 v[46:49], a[100:103], a[28:31], v[46:49]// 000000006E8C: D3B5002E 1CBA3964
	buffer_load_dwordx4 v32, s[20:23], 0 offen offset:384 lds  // 000000006E94: E05D1180 80050020
	s_add_i32 m0, m0, 0x3c0                                    // 000000006E9C: 817CFF7C 000003C0
	v_mfma_f32_16x16x32_bf16 v[46:49], a[104:107], a[32:35], v[46:49]// 000000006EA4: D3B5002E 1CBA4168
	v_mul_f32_e32 v64, v16, v64                                // 000000006EAC: 0A808110
	v_mul_f32_e32 v65, v16, v65                                // 000000006EB0: 0A828310
	ds_read_b64_tr_b16 a[168:169], v8 offset:3072              // 000000006EB4: DBC60C00 A8000008
	ds_read_b64_tr_b16 a[170:171], v8 offset:3328              // 000000006EBC: DBC60D00 AA000008
	v_mfma_f32_16x16x32_bf16 v[46:49], a[108:111], a[36:39], v[46:49]// 000000006EC4: D3B5002E 1CBA496C
	v_mul_f32_e32 v66, v16, v66                                // 000000006ECC: 0A848510
	v_mul_f32_e32 v67, v16, v67                                // 000000006ED0: 0A868710
	ds_read_b64_tr_b16 a[172:173], v9 offset:3072              // 000000006ED4: DBC60C00 AC000009
	ds_read_b64_tr_b16 a[174:175], v9 offset:3328              // 000000006EDC: DBC60D00 AE000009
	v_mfma_f32_16x16x32_bf16 v[46:49], a[112:115], a[40:43], v[46:49]// 000000006EE4: D3B5002E 1CBA5170
	v_mul_f32_e32 v68, v16, v68                                // 000000006EEC: 0A888910
	v_mul_f32_e32 v69, v16, v69                                // 000000006EF0: 0A8A8B10
	ds_read_b64_tr_b16 a[176:177], v8 offset:4096              // 000000006EF4: DBC61000 B0000008
	ds_read_b64_tr_b16 a[178:179], v8 offset:4352              // 000000006EFC: DBC61100 B2000008
	v_mfma_f32_16x16x32_bf16 v[46:49], a[116:119], a[44:47], v[46:49]// 000000006F04: D3B5002E 1CBA5974
	buffer_load_dwordx4 v32, s[20:23], 0 offen offset:448 lds  // 000000006F0C: E05D11C0 80050020
	s_add_i32 m0, m0, 0x3c0                                    // 000000006F14: 817CFF7C 000003C0
	v_mul_f32_e32 v70, v16, v70                                // 000000006F1C: 0A8C8D10
	v_mul_f32_e32 v71, v16, v71                                // 000000006F20: 0A8E8F10
	v_mfma_f32_16x16x32_bf16 v[46:49], a[120:123], a[48:51], v[46:49]// 000000006F24: D3B5002E 1CBA6178
	v_mul_f32_e32 v72, v16, v72                                // 000000006F2C: 0A909110
	v_mul_f32_e32 v73, v16, v73                                // 000000006F30: 0A929310
	ds_read_b64_tr_b16 a[180:181], v9 offset:4096              // 000000006F34: DBC61000 B4000009
	ds_read_b64_tr_b16 a[182:183], v9 offset:4352              // 000000006F3C: DBC61100 B6000009
	v_mfma_f32_16x16x32_bf16 v[46:49], a[124:127], a[52:55], v[46:49]// 000000006F44: D3B5002E 1CBA697C
	v_mul_f32_e32 v74, v16, v74                                // 000000006F4C: 0A949510
	v_mul_f32_e32 v75, v16, v75                                // 000000006F50: 0A969710
	ds_read_b64_tr_b16 a[184:185], v8 offset:5120              // 000000006F54: DBC61400 B8000008
	ds_read_b64_tr_b16 a[186:187], v8 offset:5376              // 000000006F5C: DBC61500 BA000008
	v_mfma_f32_16x16x32_bf16 v[46:49], a[128:131], a[56:59], v[46:49]// 000000006F64: D3B5002E 1CBA7180
	v_mul_f32_e32 v76, v16, v76                                // 000000006F6C: 0A989910
	v_mul_f32_e32 v77, v16, v77                                // 000000006F70: 0A9A9B10
	ds_read_b64_tr_b16 a[188:189], v9 offset:5120              // 000000006F74: DBC61400 BC000009
	ds_read_b64_tr_b16 a[190:191], v9 offset:5376              // 000000006F7C: DBC61500 BE000009
	v_mfma_f32_16x16x32_bf16 v[46:49], a[132:135], a[60:63], v[46:49]// 000000006F84: D3B5002E 1CBA7984
	buffer_load_dwordx4 v32, s[20:23], 0 offen offset:512 lds  // 000000006F8C: E05D1200 80050020
	s_add_i32 m0, m0, 0x3c0                                    // 000000006F94: 817CFF7C 000003C0
	v_mfma_f32_16x16x32_bf16 v[46:49], a[136:139], a[64:67], v[46:49]// 000000006F9C: D3B5002E 1CBA8188
	v_mul_f32_e32 v78, v16, v78                                // 000000006FA4: 0A9C9D10
	v_mul_f32_e32 v79, v16, v79                                // 000000006FA8: 0A9E9F10
	ds_read_b64_tr_b16 a[192:193], v8 offset:6144              // 000000006FAC: DBC61800 C0000008
	ds_read_b64_tr_b16 a[194:195], v8 offset:6400              // 000000006FB4: DBC61900 C2000008
	ds_read_b64_tr_b16 a[196:197], v9 offset:6144              // 000000006FBC: DBC61800 C4000009
	ds_read_b64_tr_b16 a[198:199], v9 offset:6400              // 000000006FC4: DBC61900 C6000009
	ds_read_b64_tr_b16 a[200:201], v8 offset:7168              // 000000006FCC: DBC61C00 C8000008
	ds_read_b64_tr_b16 a[202:203], v8 offset:7424              // 000000006FD4: DBC61D00 CA000008
	ds_read_b64_tr_b16 a[204:205], v9 offset:7168              // 000000006FDC: DBC61C00 CC000009
	ds_read_b64_tr_b16 a[206:207], v9 offset:7424              // 000000006FE4: DBC61D00 CE000009
	v_mov_b32_e32 v30, v16                                     // 000000006FEC: 7E3C0310
	v_mov_b32_e32 v31, v16                                     // 000000006FF0: 7E3E0310
	v_pk_mul_f32 v[80:81], v[30:31], v[80:81]                  // 000000006FF4: D3B14050 1802A11E
	v_pk_mul_f32 v[82:83], v[30:31], v[82:83]                  // 000000006FFC: D3B14052 1802A51E
	v_pk_mul_f32 v[84:85], v[30:31], v[84:85]                  // 000000007004: D3B14054 1802A91E
	v_pk_mul_f32 v[86:87], v[30:31], v[86:87]                  // 00000000700C: D3B14056 1802AD1E
	v_pk_mul_f32 v[88:89], v[30:31], v[88:89]                  // 000000007014: D3B14058 1802B11E
	v_pk_mul_f32 v[90:91], v[30:31], v[90:91]                  // 00000000701C: D3B1405A 1802B51E
	v_pk_mul_f32 v[92:93], v[30:31], v[92:93]                  // 000000007024: D3B1405C 1802B91E
	v_pk_mul_f32 v[94:95], v[30:31], v[94:95]                  // 00000000702C: D3B1405E 1802BD1E
	v_pk_mul_f32 v[96:97], v[30:31], v[96:97]                  // 000000007034: D3B14060 1802C11E
	v_pk_mul_f32 v[98:99], v[30:31], v[98:99]                  // 00000000703C: D3B14062 1802C51E
	v_pk_mul_f32 v[100:101], v[30:31], v[100:101]              // 000000007044: D3B14064 1802C91E
	v_pk_mul_f32 v[102:103], v[30:31], v[102:103]              // 00000000704C: D3B14066 1802CD1E
	v_pk_mul_f32 v[104:105], v[30:31], v[104:105]              // 000000007054: D3B14068 1802D11E
	v_pk_mul_f32 v[106:107], v[30:31], v[106:107]              // 00000000705C: D3B1406A 1802D51E
	v_pk_mul_f32 v[108:109], v[30:31], v[108:109]              // 000000007064: D3B1406C 1802D91E
	v_pk_mul_f32 v[110:111], v[30:31], v[110:111]              // 00000000706C: D3B1406E 1802DD1E
	v_pk_mul_f32 v[112:113], v[30:31], v[112:113]              // 000000007074: D3B14070 1802E11E
	v_pk_mul_f32 v[114:115], v[30:31], v[114:115]              // 00000000707C: D3B14072 1802E51E
	v_pk_mul_f32 v[116:117], v[30:31], v[116:117]              // 000000007084: D3B14074 1802E91E
	v_pk_mul_f32 v[118:119], v[30:31], v[118:119]              // 00000000708C: D3B14076 1802ED1E
	v_pk_mul_f32 v[120:121], v[30:31], v[120:121]              // 000000007094: D3B14078 1802F11E
	v_pk_mul_f32 v[122:123], v[30:31], v[122:123]              // 00000000709C: D3B1407A 1802F51E
	v_pk_mul_f32 v[124:125], v[30:31], v[124:125]              // 0000000070A4: D3B1407C 1802F91E
	v_pk_mul_f32 v[126:127], v[30:31], v[126:127]              // 0000000070AC: D3B1407E 1802FD1E
	v_pk_mul_f32 v[128:129], v[30:31], v[128:129]              // 0000000070B4: D3B14080 1803011E
	v_pk_mul_f32 v[130:131], v[30:31], v[130:131]              // 0000000070BC: D3B14082 1803051E
	v_pk_mul_f32 v[132:133], v[30:31], v[132:133]              // 0000000070C4: D3B14084 1803091E
	v_pk_mul_f32 v[134:135], v[30:31], v[134:135]              // 0000000070CC: D3B14086 18030D1E
	v_pk_mul_f32 v[136:137], v[30:31], v[136:137]              // 0000000070D4: D3B14088 1803111E
	v_pk_mul_f32 v[138:139], v[30:31], v[138:139]              // 0000000070DC: D3B1408A 1803151E
	v_pk_mul_f32 v[140:141], v[30:31], v[140:141]              // 0000000070E4: D3B1408C 1803191E
	v_pk_mul_f32 v[142:143], v[30:31], v[142:143]              // 0000000070EC: D3B1408E 18031D1E
	v_pk_mul_f32 v[144:145], v[30:31], v[144:145]              // 0000000070F4: D3B14090 1803211E
	v_pk_mul_f32 v[146:147], v[30:31], v[146:147]              // 0000000070FC: D3B14092 1803251E
	v_pk_mul_f32 v[148:149], v[30:31], v[148:149]              // 000000007104: D3B14094 1803291E
	v_pk_mul_f32 v[150:151], v[30:31], v[150:151]              // 00000000710C: D3B14096 18032D1E
	v_pk_mul_f32 v[152:153], v[30:31], v[152:153]              // 000000007114: D3B14098 1803311E
	v_pk_mul_f32 v[154:155], v[30:31], v[154:155]              // 00000000711C: D3B1409A 1803351E
	v_pk_mul_f32 v[156:157], v[30:31], v[156:157]              // 000000007124: D3B1409C 1803391E
	v_pk_mul_f32 v[158:159], v[30:31], v[158:159]              // 00000000712C: D3B1409E 18033D1E
	v_pk_mul_f32 v[160:161], v[30:31], v[160:161]              // 000000007134: D3B140A0 1803411E
	v_pk_mul_f32 v[162:163], v[30:31], v[162:163]              // 00000000713C: D3B140A2 1803451E
	v_pk_mul_f32 v[164:165], v[30:31], v[164:165]              // 000000007144: D3B140A4 1803491E
	v_pk_mul_f32 v[166:167], v[30:31], v[166:167]              // 00000000714C: D3B140A6 18034D1E
	v_pk_mul_f32 v[168:169], v[30:31], v[168:169]              // 000000007154: D3B140A8 1803511E
	v_pk_mul_f32 v[170:171], v[30:31], v[170:171]              // 00000000715C: D3B140AA 1803551E
	v_pk_mul_f32 v[172:173], v[30:31], v[172:173]              // 000000007164: D3B140AC 1803591E
	v_pk_mul_f32 v[174:175], v[30:31], v[174:175]              // 00000000716C: D3B140AE 18035D1E
	v_pk_mul_f32 v[176:177], v[30:31], v[176:177]              // 000000007174: D3B140B0 1803611E
	v_mfma_f32_16x16x32_bf16 v[46:49], a[140:143], a[68:71], v[46:49]// 00000000717C: D3B5002E 1CBA898C
	s_addk_i32 s70, 0x1                                        // 000000007184: B7460001
	s_cmp_lt_i32 s70, s71                                      // 000000007188: BF044746
	s_cbranch_scc0 label_39A4                                  // 00000000718C: BF84FB45
	s_waitcnt lgkmcnt(0)                                       // 000000007190: BF8CC07F
	v_mul_u32_u24_e64 v32, v24, s68                            // 000000007194: D1080020 00008918
	v_add_u32_e32 v32, v32, v1                                 // 00000000719C: 68400320
	v_mfma_f32_16x16x32_bf16 v[50:53], a[144:147], v[34:37], v[50:53]// 0000000071A0: D3B50032 0CCA4590
	v_mov_b32_e32 v29, v42                                     // 0000000071A8: 7E3A032A
	v_max3_f32 v29, v42, v43, v29                              // 0000000071AC: D1D3001D 0476572A
	v_mfma_f32_16x16x32_bf16 v[54:57], a[148:151], v[34:37], v[54:57]// 0000000071B4: D3B50036 0CDA4594
	ds_read_b64_tr_b16 a[144:145], v8 offset:8192              // 0000000071BC: DBC62000 90000008
	ds_read_b64_tr_b16 a[146:147], v8 offset:8448              // 0000000071C4: DBC62100 92000008
	v_mfma_f32_16x16x32_bf16 v[58:61], a[152:155], v[34:37], v[58:61]// 0000000071CC: D3B5003A 0CEA4598
	v_max3_f32 v29, v44, v45, v29                              // 0000000071D4: D1D3001D 04765B2C
	v_max3_f32 v29, v46, v47, v29                              // 0000000071DC: D1D3001D 04765F2E
	v_mfma_f32_16x16x32_bf16 v[62:65], a[156:159], v[34:37], v[62:65]// 0000000071E4: D3B5003E 0CFA459C
	ds_read_b64_tr_b16 a[148:149], v9 offset:8192              // 0000000071EC: DBC62000 94000009
	ds_read_b64_tr_b16 a[150:151], v9 offset:8448              // 0000000071F4: DBC62100 96000009
	v_mfma_f32_16x16x32_bf16 v[66:69], a[160:163], v[34:37], v[66:69]// 0000000071FC: D3B50042 0D0A45A0
	v_max3_f32 v29, v48, v49, v29                              // 000000007204: D1D3001D 04766330
	v_mov_b32_e32 v28, v29                                     // 00000000720C: 7E38031D
	v_mfma_f32_16x16x32_bf16 v[70:73], a[164:167], v[34:37], v[70:73]// 000000007210: D3B50046 0D1A45A4
	ds_read_b64_tr_b16 a[152:153], v8 offset:9216              // 000000007218: DBC62400 98000008
	ds_read_b64_tr_b16 a[154:155], v8 offset:9472              // 000000007220: DBC62500 9A000008
	v_mfma_f32_16x16x32_bf16 v[74:77], a[168:171], v[34:37], v[74:77]// 000000007228: D3B5004A 0D2A45A8
	v_mov_b32_e32 v29, v29                                     // 000000007230: 7E3A031D
	s_nop 1                                                    // 000000007234: BF800001
	v_mfma_f32_16x16x32_bf16 v[78:81], a[172:175], v[34:37], v[78:81]// 000000007238: D3B5004E 0D3A45AC
	ds_read_b64_tr_b16 a[156:157], v9 offset:9216              // 000000007240: DBC62400 9C000009
	ds_read_b64_tr_b16 a[158:159], v9 offset:9472              // 000000007248: DBC62500 9E000009
	v_mfma_f32_16x16x32_bf16 v[82:85], a[176:179], v[34:37], v[82:85]// 000000007250: D3B50052 0D4A45B0
	v_permlane16_swap_b32_e32 v28, v29                         // 000000007258: 7E38B31D
	v_mfma_f32_16x16x32_bf16 v[86:89], a[180:183], v[34:37], v[86:89]// 00000000725C: D3B50056 0D5A45B4
	ds_read_b64_tr_b16 a[160:161], v8 offset:10240             // 000000007264: DBC62800 A0000008
	ds_read_b64_tr_b16 a[162:163], v8 offset:10496             // 00000000726C: DBC62900 A2000008
	v_mfma_f32_16x16x32_bf16 v[90:93], a[184:187], v[34:37], v[90:93]// 000000007274: D3B5005A 0D6A45B8
	v_mov_b32_e32 v31, v28                                     // 00000000727C: 7E3E031C
	v_mov_b32_e32 v30, v29                                     // 000000007280: 7E3C031D
	v_mfma_f32_16x16x32_bf16 v[94:97], a[188:191], v[34:37], v[94:97]// 000000007284: D3B5005E 0D7A45BC
	ds_read_b64_tr_b16 a[164:165], v9 offset:10240             // 00000000728C: DBC62800 A4000009
	ds_read_b64_tr_b16 a[166:167], v9 offset:10496             // 000000007294: DBC62900 A6000009
	v_mfma_f32_16x16x32_bf16 v[98:101], a[192:195], v[34:37], v[98:101]// 00000000729C: D3B50062 0D8A45C0
	s_nop 1                                                    // 0000000072A4: BF800001
	v_permlane32_swap_b32_e32 v28, v29                         // 0000000072A8: 7E38B51D
	v_mfma_f32_16x16x32_bf16 v[102:105], a[196:199], v[34:37], v[102:105]// 0000000072AC: D3B50066 0D9A45C4
	ds_read_b64_tr_b16 a[168:169], v8 offset:11264             // 0000000072B4: DBC62C00 A8000008
	ds_read_b64_tr_b16 a[170:171], v8 offset:11520             // 0000000072BC: DBC62D00 AA000008
	v_mfma_f32_16x16x32_bf16 v[106:109], a[200:203], v[34:37], v[106:109]// 0000000072C4: D3B5006A 0DAA45C8
	v_permlane32_swap_b32_e32 v30, v31                         // 0000000072CC: 7E3CB51F
	v_mfma_f32_16x16x32_bf16 v[110:113], a[204:207], v[34:37], v[110:113]// 0000000072D0: D3B5006E 0DBA45CC
	ds_read_b64_tr_b16 a[172:173], v9 offset:11264             // 0000000072D8: DBC62C00 AC000009
	ds_read_b64_tr_b16 a[174:175], v9 offset:11520             // 0000000072E0: DBC62D00 AE000009
	ds_read_b64_tr_b16 a[176:177], v8 offset:12288             // 0000000072E8: DBC63000 B0000008
	ds_read_b64_tr_b16 a[178:179], v8 offset:12544             // 0000000072F0: DBC63100 B2000008
	ds_read_b64_tr_b16 a[180:181], v9 offset:12288             // 0000000072F8: DBC63000 B4000009
	ds_read_b64_tr_b16 a[182:183], v9 offset:12544             // 000000007300: DBC63100 B6000009
	ds_read_b64_tr_b16 a[184:185], v8 offset:13312             // 000000007308: DBC63400 B8000008
	ds_read_b64_tr_b16 a[186:187], v8 offset:13568             // 000000007310: DBC63500 BA000008
	ds_read_b64_tr_b16 a[188:189], v9 offset:13312             // 000000007318: DBC63400 BC000009
	ds_read_b64_tr_b16 a[190:191], v9 offset:13568             // 000000007320: DBC63500 BE000009
	s_waitcnt lgkmcnt(0)                                       // 000000007328: BF8CC07F
	v_mfma_f32_16x16x32_bf16 v[114:117], a[144:147], v[34:37], v[114:117]// 00000000732C: D3B50072 0DCA4590
	ds_read_b64_tr_b16 a[192:193], v8 offset:14336             // 000000007334: DBC63800 C0000008
	ds_read_b64_tr_b16 a[194:195], v8 offset:14592             // 00000000733C: DBC63900 C2000008
	v_mfma_f32_16x16x32_bf16 v[118:121], a[148:151], v[34:37], v[118:121]// 000000007344: D3B50076 0DDA4594
	s_waitcnt vmcnt(10)                                        // 00000000734C: BF8C0F7A
	s_barrier                                                  // 000000007350: BF8A0000
	ds_read_b128 a[72:75], v20                                 // 000000007354: DBFE0000 48000014
	ds_read_b128 a[76:79], v20 offset:1024                     // 00000000735C: DBFE0400 4C000014
	v_mfma_f32_16x16x32_bf16 v[122:125], a[152:155], v[34:37], v[122:125]// 000000007364: D3B5007A 0DEA4598
	ds_read_b64_tr_b16 a[196:197], v9 offset:14336             // 00000000736C: DBC63800 C4000009
	ds_read_b64_tr_b16 a[198:199], v9 offset:14592             // 000000007374: DBC63900 C6000009
	v_mfma_f32_16x16x32_bf16 v[126:129], a[156:159], v[34:37], v[126:129]// 00000000737C: D3B5007E 0DFA459C
	ds_read_b128 a[80:83], v20 offset:2048                     // 000000007384: DBFE0800 50000014
	ds_read_b128 a[84:87], v20 offset:3072                     // 00000000738C: DBFE0C00 54000014
	v_mfma_f32_16x16x32_bf16 v[130:133], a[160:163], v[34:37], v[130:133]// 000000007394: D3B50082 0E0A45A0
	ds_read_b64_tr_b16 a[200:201], v8 offset:15360             // 00000000739C: DBC63C00 C8000008
	ds_read_b64_tr_b16 a[202:203], v8 offset:15616             // 0000000073A4: DBC63D00 CA000008
	v_mfma_f32_16x16x32_bf16 v[134:137], a[164:167], v[34:37], v[134:137]// 0000000073AC: D3B50086 0E1A45A4
	ds_read_b128 a[88:91], v20 offset:4096                     // 0000000073B4: DBFE1000 58000014
	ds_read_b128 a[92:95], v20 offset:5120                     // 0000000073BC: DBFE1400 5C000014
	v_mfma_f32_16x16x32_bf16 v[138:141], a[168:171], v[34:37], v[138:141]// 0000000073C4: D3B5008A 0E2A45A8
	ds_read_b64_tr_b16 a[204:205], v9 offset:15360             // 0000000073CC: DBC63C00 CC000009
	ds_read_b64_tr_b16 a[206:207], v9 offset:15616             // 0000000073D4: DBC63D00 CE000009
	v_mfma_f32_16x16x32_bf16 v[142:145], a[172:175], v[34:37], v[142:145]// 0000000073DC: D3B5008E 0E3A45AC
	ds_read_b128 a[96:99], v20 offset:6144                     // 0000000073E4: DBFE1800 60000014
	ds_read_b128 a[100:103], v20 offset:7168                   // 0000000073EC: DBFE1C00 64000014
	v_mfma_f32_16x16x32_bf16 v[146:149], a[176:179], v[34:37], v[146:149]// 0000000073F4: D3B50092 0E4A45B0
	v_max3_f32 v29, v28, v29, v29                              // 0000000073FC: D1D3001D 04763B1C
	v_max3_f32 v29, v30, v31, v29                              // 000000007404: D1D3001D 04763F1E
	v_mfma_f32_16x16x32_bf16 v[150:153], a[180:183], v[34:37], v[150:153]// 00000000740C: D3B50096 0E5A45B4
	ds_read_b128 a[104:107], v20 offset:8192                   // 000000007414: DBFE2000 68000014
	ds_read_b128 a[108:111], v20 offset:9216                   // 00000000741C: DBFE2400 6C000014
	v_mfma_f32_16x16x32_bf16 v[154:157], a[184:187], v[34:37], v[154:157]// 000000007424: D3B5009A 0E6A45B8
	v_mov_b32_e32 v28, 0xff800000                              // 00000000742C: 7E3802FF FF800000
	v_cmp_eq_u32_e64 s[36:37], v28, v2                         // 000000007434: D0CA0024 0002051C
	v_mfma_f32_16x16x32_bf16 v[158:161], a[188:191], v[34:37], v[158:161]// 00000000743C: D3B5009E 0E7A45BC
	ds_read_b128 a[112:115], v20 offset:10240                  // 000000007444: DBFE2800 70000014
	ds_read_b128 a[116:119], v20 offset:11264                  // 00000000744C: DBFE2C00 74000014
	v_mfma_f32_16x16x32_bf16 v[162:165], a[192:195], v[34:37], v[162:165]// 000000007454: D3B500A2 0E8A45C0
	v_max_f32_e32 v29, v29, v2                                 // 00000000745C: 163A051D
	v_sub_f32_e32 v16, v2, v29                                 // 000000007460: 04203B02
	v_mfma_f32_16x16x32_bf16 v[166:169], a[196:199], v[34:37], v[166:169]// 000000007464: D3B500A6 0E9A45C4
	ds_read_b128 a[120:123], v20 offset:12288                  // 00000000746C: DBFE3000 78000014
	ds_read_b128 a[124:127], v20 offset:13312                  // 000000007474: DBFE3400 7C000014
	v_mfma_f32_16x16x32_bf16 v[170:173], a[200:203], v[34:37], v[170:173]// 00000000747C: D3B500AA 0EAA45C8
	v_cndmask_b32_e64 v16, v16, 0, s[36:37]                    // 000000007484: D1000010 00910110
	v_mov_b32_e32 v2, v29                                      // 00000000748C: 7E04031D
	v_mfma_f32_16x16x32_bf16 v[174:177], a[204:207], v[34:37], v[174:177]// 000000007490: D3B500AE 0EBA45CC
	ds_read_b128 a[128:131], v20 offset:14336                  // 000000007498: DBFE3800 80000014
	ds_read_b128 a[132:135], v20 offset:15360                  // 0000000074A0: DBFE3C00 84000014
	ds_read_b128 a[136:139], v20 offset:16384                  // 0000000074A8: DBFE4000 88000014
	ds_read_b128 a[140:143], v20 offset:17408                  // 0000000074B0: DBFE4400 8C000014
	s_waitcnt lgkmcnt(0)                                       // 0000000074B8: BF8CC07F
	v_mfma_f32_16x16x32_bf16 v[34:37], a[72:75], a[0:3], 0     // 0000000074BC: D3B50022 1A020148
	buffer_load_dword v22, v26, s[24:27], 0 offen              // 0000000074C4: E0501000 8006161A
	v_mul_f32_e32 v29, s5, v29                                 // 0000000074CC: 0A3A3A05
	s_mov_b32 s56, 0x2000                                      // 0000000074D0: BEB800FF 00002000
	s_mul_i32 s57, s7, 0x2400                                  // 0000000074D8: 9239FF07 00002400
	s_add_u32 m0, s56, s57                                     // 0000000074E0: 807C3938
	buffer_load_dwordx4 v32, s[20:23], 0 offen lds             // 0000000074E4: E05D1000 80050020
	s_add_i32 m0, m0, 0x3c0                                    // 0000000074EC: 817CFF7C 000003C0
	v_mfma_f32_16x16x32_bf16 v[34:37], a[76:79], a[4:7], v[34:37]// 0000000074F4: D3B50022 1C8A094C
	buffer_load_dwordx4 v32, s[20:23], 0 offen offset:64 lds   // 0000000074FC: E05D1040 80050020
	s_add_i32 m0, m0, 0x3c0                                    // 000000007504: 817CFF7C 000003C0
	v_mfma_f32_16x16x32_bf16 v[34:37], a[80:83], a[8:11], v[34:37]// 00000000750C: D3B50022 1C8A1150
	v_mul_f32_e32 v16, s5, v16                                 // 000000007514: 0A202005
	v_exp_f32_e32 v16, v16                                     // 000000007518: 7E204110
	v_mfma_f32_16x16x32_bf16 v[34:37], a[84:87], a[12:15], v[34:37]// 00000000751C: D3B50022 1C8A1954
	v_add_u32_e32 v26, s73, v26                                // 000000007524: 68343449
	ds_read_b128 a[72:75], v20 offset:18432                    // 000000007528: DBFE4800 48000014
	ds_read_b128 a[76:79], v20 offset:19456                    // 000000007530: DBFE4C00 4C000014
	v_fma_f32 v42, v42, s5, -v29                               // 000000007538: D1CB002A 84740B2A
	v_mfma_f32_16x16x32_bf16 v[34:37], a[88:91], a[16:19], v[34:37]// 000000007540: D3B50022 1C8A2158
	ds_read_b128 a[80:83], v20 offset:20480                    // 000000007548: DBFE5000 50000014
	ds_read_b128 a[84:87], v20 offset:21504                    // 000000007550: DBFE5400 54000014
	v_fma_f32 v43, v43, s5, -v29                               // 000000007558: D1CB002B 84740B2B
	v_mfma_f32_16x16x32_bf16 v[34:37], a[92:95], a[20:23], v[34:37]// 000000007560: D3B50022 1C8A295C
	buffer_load_dwordx4 v32, s[20:23], 0 offen offset:128 lds  // 000000007568: E05D1080 80050020
	s_add_i32 m0, m0, 0x3c0                                    // 000000007570: 817CFF7C 000003C0
	v_mfma_f32_16x16x32_bf16 v[34:37], a[96:99], a[24:27], v[34:37]// 000000007578: D3B50022 1C8A3160
	v_fma_f32 v44, v44, s5, -v29                               // 000000007580: D1CB002C 84740B2C
	v_fma_f32 v45, v45, s5, -v29                               // 000000007588: D1CB002D 84740B2D
	v_mfma_f32_16x16x32_bf16 v[34:37], a[100:103], a[28:31], v[34:37]// 000000007590: D3B50022 1C8A3964
	ds_read_b128 a[88:91], v20 offset:22528                    // 000000007598: DBFE5800 58000014
	ds_read_b128 a[92:95], v20 offset:23552                    // 0000000075A0: DBFE5C00 5C000014
	v_fma_f32 v46, v46, s5, -v29                               // 0000000075A8: D1CB002E 84740B2E
	v_mfma_f32_16x16x32_bf16 v[34:37], a[104:107], a[32:35], v[34:37]// 0000000075B0: D3B50022 1C8A4168
	ds_read_b128 a[96:99], v20 offset:24576                    // 0000000075B8: DBFE6000 60000014
	ds_read_b128 a[100:103], v20 offset:25600                  // 0000000075C0: DBFE6400 64000014
	v_fma_f32 v47, v47, s5, -v29                               // 0000000075C8: D1CB002F 84740B2F
	v_mfma_f32_16x16x32_bf16 v[34:37], a[108:111], a[36:39], v[34:37]// 0000000075D0: D3B50022 1C8A496C
	buffer_load_dwordx4 v32, s[20:23], 0 offen offset:192 lds  // 0000000075D8: E05D10C0 80050020
	s_add_i32 m0, m0, 0x3c0                                    // 0000000075E0: 817CFF7C 000003C0
	v_mfma_f32_16x16x32_bf16 v[34:37], a[112:115], a[40:43], v[34:37]// 0000000075E8: D3B50022 1C8A5170
	v_fma_f32 v48, v48, s5, -v29                               // 0000000075F0: D1CB0030 84740B30
	v_fma_f32 v49, v49, s5, -v29                               // 0000000075F8: D1CB0031 84740B31
	v_mfma_f32_16x16x32_bf16 v[34:37], a[116:119], a[44:47], v[34:37]// 000000007600: D3B50022 1C8A5974
	v_exp_f32_e32 v42, v42                                     // 000000007608: 7E54412A
	v_mfma_f32_16x16x32_bf16 v[34:37], a[120:123], a[48:51], v[34:37]// 00000000760C: D3B50022 1C8A6178
	ds_read_b128 a[104:107], v20 offset:26624                  // 000000007614: DBFE6800 68000014
	ds_read_b128 a[108:111], v20 offset:27648                  // 00000000761C: DBFE6C00 6C000014
	v_exp_f32_e32 v43, v43                                     // 000000007624: 7E56412B
	v_mfma_f32_16x16x32_bf16 v[34:37], a[124:127], a[52:55], v[34:37]// 000000007628: D3B50022 1C8A697C
	buffer_load_dwordx4 v32, s[20:23], 0 offen offset:256 lds  // 000000007630: E05D1100 80050020
	s_add_i32 m0, m0, 0x3c0                                    // 000000007638: 817CFF7C 000003C0
	v_mfma_f32_16x16x32_bf16 v[34:37], a[128:131], a[56:59], v[34:37]// 000000007640: D3B50022 1C8A7180
	v_exp_f32_e32 v44, v44                                     // 000000007648: 7E58412C
	v_mfma_f32_16x16x32_bf16 v[34:37], a[132:135], a[60:63], v[34:37]// 00000000764C: D3B50022 1C8A7984
	ds_read_b128 a[112:115], v20 offset:28672                  // 000000007654: DBFE7000 70000014
	ds_read_b128 a[116:119], v20 offset:29696                  // 00000000765C: DBFE7400 74000014
	v_exp_f32_e32 v45, v45                                     // 000000007664: 7E5A412D
	v_mfma_f32_16x16x32_bf16 v[34:37], a[136:139], a[64:67], v[34:37]// 000000007668: D3B50022 1C8A8188
	ds_read_b128 a[120:123], v20 offset:30720                  // 000000007670: DBFE7800 78000014
	ds_read_b128 a[124:127], v20 offset:31744                  // 000000007678: DBFE7C00 7C000014
	v_exp_f32_e32 v46, v46                                     // 000000007680: 7E5C412E
	v_mfma_f32_16x16x32_bf16 v[34:37], a[140:143], a[68:71], v[34:37]// 000000007684: D3B50022 1C8A898C
	ds_read_b128 a[128:131], v20 offset:32768                  // 00000000768C: DBFE8000 80000014
	ds_read_b128 a[132:135], v20 offset:33792                  // 000000007694: DBFE8400 84000014
	v_exp_f32_e32 v47, v47                                     // 00000000769C: 7E5E412F
	ds_read_b128 a[136:139], v20 offset:34816                  // 0000000076A0: DBFE8800 88000014
	ds_read_b128 a[140:143], v20 offset:35840                  // 0000000076A8: DBFE8C00 8C000014
	v_exp_f32_e32 v48, v48                                     // 0000000076B0: 7E604130
	v_exp_f32_e32 v49, v49                                     // 0000000076B4: 7E624131
	v_mul_f32_e32 v4, v16, v4                                  // 0000000076B8: 0A080910
	v_mov_b32_e32 v28, v42                                     // 0000000076BC: 7E38032A
	v_add_f32_e32 v28, v43, v28                                // 0000000076C0: 0238392B
	v_add_f32_e32 v28, v44, v28                                // 0000000076C4: 0238392C
	v_add_f32_e32 v28, v45, v28                                // 0000000076C8: 0238392D
	v_add_f32_e32 v28, v46, v28                                // 0000000076CC: 0238392E
	v_add_f32_e32 v28, v47, v28                                // 0000000076D0: 0238392F
	v_add_f32_e32 v28, v48, v28                                // 0000000076D4: 02383930
	v_add_f32_e32 v28, v49, v28                                // 0000000076D8: 02383931
	v_add_f32_e32 v4, v28, v4                                  // 0000000076DC: 0208091C
	v_cvt_pk_bf16_f32 v42, v42, v43                            // 0000000076E0: D268002A 0002572A
	v_cvt_pk_bf16_f32 v43, v44, v45                            // 0000000076E8: D268002B 00025B2C
	v_cvt_pk_bf16_f32 v44, v46, v47                            // 0000000076F0: D268002C 00025F2E
	v_cvt_pk_bf16_f32 v45, v48, v49                            // 0000000076F8: D268002D 00026330
	s_nop 0                                                    // 000000007700: BF800000
	v_permlane32_swap_b32_e32 v42, v44                         // 000000007704: 7E54B52C
	v_permlane32_swap_b32_e32 v43, v45                         // 000000007708: 7E56B52D
	s_nop 0                                                    // 00000000770C: BF800000
	v_permlane16_swap_b32_e32 v42, v44                         // 000000007710: 7E54B32C
	v_permlane16_swap_b32_e32 v43, v45                         // 000000007714: 7E56B32D
	s_waitcnt lgkmcnt(0)                                       // 000000007718: BF8CC07F
	v_mfma_f32_16x16x32_bf16 v[38:41], a[72:75], a[0:3], 0     // 00000000771C: D3B50026 1A020148
	v_mul_f32_e32 v50, v16, v50                                // 000000007724: 0A646510
	v_mul_f32_e32 v51, v16, v51                                // 000000007728: 0A666710
	ds_read_b64_tr_b16 a[144:145], v10                         // 00000000772C: DBC60000 9000000A
	ds_read_b64_tr_b16 a[146:147], v10 offset:256              // 000000007734: DBC60100 9200000A
	v_mfma_f32_16x16x32_bf16 v[38:41], a[76:79], a[4:7], v[38:41]// 00000000773C: D3B50026 1C9A094C
	buffer_load_dwordx4 v32, s[20:23], 0 offen offset:320 lds  // 000000007744: E05D1140 80050020
	s_add_i32 m0, m0, 0x3c0                                    // 00000000774C: 817CFF7C 000003C0
	v_mul_f32_e32 v52, v16, v52                                // 000000007754: 0A686910
	v_mul_f32_e32 v53, v16, v53                                // 000000007758: 0A6A6B10
	v_mfma_f32_16x16x32_bf16 v[38:41], a[80:83], a[8:11], v[38:41]// 00000000775C: D3B50026 1C9A1150
	v_mul_f32_e32 v54, v16, v54                                // 000000007764: 0A6C6D10
	v_mul_f32_e32 v55, v16, v55                                // 000000007768: 0A6E6F10
	ds_read_b64_tr_b16 a[148:149], v11                         // 00000000776C: DBC60000 9400000B
	ds_read_b64_tr_b16 a[150:151], v11 offset:256              // 000000007774: DBC60100 9600000B
	v_mfma_f32_16x16x32_bf16 v[38:41], a[84:87], a[12:15], v[38:41]// 00000000777C: D3B50026 1C9A1954
	v_mul_f32_e32 v56, v16, v56                                // 000000007784: 0A707110
	v_mul_f32_e32 v57, v16, v57                                // 000000007788: 0A727310
	ds_read_b64_tr_b16 a[152:153], v10 offset:1024             // 00000000778C: DBC60400 9800000A
	ds_read_b64_tr_b16 a[154:155], v10 offset:1280             // 000000007794: DBC60500 9A00000A
	v_mfma_f32_16x16x32_bf16 v[38:41], a[88:91], a[16:19], v[38:41]// 00000000779C: D3B50026 1C9A2158
	v_mul_f32_e32 v58, v16, v58                                // 0000000077A4: 0A747510
	v_mul_f32_e32 v59, v16, v59                                // 0000000077A8: 0A767710
	ds_read_b64_tr_b16 a[156:157], v11 offset:1024             // 0000000077AC: DBC60400 9C00000B
	ds_read_b64_tr_b16 a[158:159], v11 offset:1280             // 0000000077B4: DBC60500 9E00000B
	v_mfma_f32_16x16x32_bf16 v[38:41], a[92:95], a[20:23], v[38:41]// 0000000077BC: D3B50026 1C9A295C
	v_mul_f32_e32 v60, v16, v60                                // 0000000077C4: 0A787910
	v_mul_f32_e32 v61, v16, v61                                // 0000000077C8: 0A7A7B10
	ds_read_b64_tr_b16 a[160:161], v10 offset:2048             // 0000000077CC: DBC60800 A000000A
	ds_read_b64_tr_b16 a[162:163], v10 offset:2304             // 0000000077D4: DBC60900 A200000A
	v_mfma_f32_16x16x32_bf16 v[38:41], a[96:99], a[24:27], v[38:41]// 0000000077DC: D3B50026 1C9A3160
	v_mul_f32_e32 v62, v16, v62                                // 0000000077E4: 0A7C7D10
	v_mul_f32_e32 v63, v16, v63                                // 0000000077E8: 0A7E7F10
	ds_read_b64_tr_b16 a[164:165], v11 offset:2048             // 0000000077EC: DBC60800 A400000B
	ds_read_b64_tr_b16 a[166:167], v11 offset:2304             // 0000000077F4: DBC60900 A600000B
	v_mfma_f32_16x16x32_bf16 v[38:41], a[100:103], a[28:31], v[38:41]// 0000000077FC: D3B50026 1C9A3964
	buffer_load_dwordx4 v32, s[20:23], 0 offen offset:384 lds  // 000000007804: E05D1180 80050020
	s_add_i32 m0, m0, 0x3c0                                    // 00000000780C: 817CFF7C 000003C0
	v_mfma_f32_16x16x32_bf16 v[38:41], a[104:107], a[32:35], v[38:41]// 000000007814: D3B50026 1C9A4168
	v_mul_f32_e32 v64, v16, v64                                // 00000000781C: 0A808110
	v_mul_f32_e32 v65, v16, v65                                // 000000007820: 0A828310
	ds_read_b64_tr_b16 a[168:169], v10 offset:3072             // 000000007824: DBC60C00 A800000A
	ds_read_b64_tr_b16 a[170:171], v10 offset:3328             // 00000000782C: DBC60D00 AA00000A
	v_mfma_f32_16x16x32_bf16 v[38:41], a[108:111], a[36:39], v[38:41]// 000000007834: D3B50026 1C9A496C
	v_mul_f32_e32 v66, v16, v66                                // 00000000783C: 0A848510
	v_mul_f32_e32 v67, v16, v67                                // 000000007840: 0A868710
	ds_read_b64_tr_b16 a[172:173], v11 offset:3072             // 000000007844: DBC60C00 AC00000B
	ds_read_b64_tr_b16 a[174:175], v11 offset:3328             // 00000000784C: DBC60D00 AE00000B
	v_mfma_f32_16x16x32_bf16 v[38:41], a[112:115], a[40:43], v[38:41]// 000000007854: D3B50026 1C9A5170
	v_mul_f32_e32 v68, v16, v68                                // 00000000785C: 0A888910
	v_mul_f32_e32 v69, v16, v69                                // 000000007860: 0A8A8B10
	ds_read_b64_tr_b16 a[176:177], v10 offset:4096             // 000000007864: DBC61000 B000000A
	ds_read_b64_tr_b16 a[178:179], v10 offset:4352             // 00000000786C: DBC61100 B200000A
	v_mfma_f32_16x16x32_bf16 v[38:41], a[116:119], a[44:47], v[38:41]// 000000007874: D3B50026 1C9A5974
	buffer_load_dwordx4 v32, s[20:23], 0 offen offset:448 lds  // 00000000787C: E05D11C0 80050020
	s_add_i32 m0, m0, 0x3c0                                    // 000000007884: 817CFF7C 000003C0
	v_mul_f32_e32 v70, v16, v70                                // 00000000788C: 0A8C8D10
	v_mul_f32_e32 v71, v16, v71                                // 000000007890: 0A8E8F10
	v_mfma_f32_16x16x32_bf16 v[38:41], a[120:123], a[48:51], v[38:41]// 000000007894: D3B50026 1C9A6178
	v_mul_f32_e32 v72, v16, v72                                // 00000000789C: 0A909110
	v_mul_f32_e32 v73, v16, v73                                // 0000000078A0: 0A929310
	ds_read_b64_tr_b16 a[180:181], v11 offset:4096             // 0000000078A4: DBC61000 B400000B
	ds_read_b64_tr_b16 a[182:183], v11 offset:4352             // 0000000078AC: DBC61100 B600000B
	v_mfma_f32_16x16x32_bf16 v[38:41], a[124:127], a[52:55], v[38:41]// 0000000078B4: D3B50026 1C9A697C
	v_mul_f32_e32 v74, v16, v74                                // 0000000078BC: 0A949510
	v_mul_f32_e32 v75, v16, v75                                // 0000000078C0: 0A969710
	ds_read_b64_tr_b16 a[184:185], v10 offset:5120             // 0000000078C4: DBC61400 B800000A
	ds_read_b64_tr_b16 a[186:187], v10 offset:5376             // 0000000078CC: DBC61500 BA00000A
	v_mfma_f32_16x16x32_bf16 v[38:41], a[128:131], a[56:59], v[38:41]// 0000000078D4: D3B50026 1C9A7180
	v_mul_f32_e32 v76, v16, v76                                // 0000000078DC: 0A989910
	v_mul_f32_e32 v77, v16, v77                                // 0000000078E0: 0A9A9B10
	ds_read_b64_tr_b16 a[188:189], v11 offset:5120             // 0000000078E4: DBC61400 BC00000B
	ds_read_b64_tr_b16 a[190:191], v11 offset:5376             // 0000000078EC: DBC61500 BE00000B
	v_mfma_f32_16x16x32_bf16 v[38:41], a[132:135], a[60:63], v[38:41]// 0000000078F4: D3B50026 1C9A7984
	buffer_load_dwordx4 v32, s[20:23], 0 offen offset:512 lds  // 0000000078FC: E05D1200 80050020
	s_add_i32 m0, m0, 0x3c0                                    // 000000007904: 817CFF7C 000003C0
	v_mfma_f32_16x16x32_bf16 v[38:41], a[136:139], a[64:67], v[38:41]// 00000000790C: D3B50026 1C9A8188
	v_mul_f32_e32 v78, v16, v78                                // 000000007914: 0A9C9D10
	v_mul_f32_e32 v79, v16, v79                                // 000000007918: 0A9E9F10
	ds_read_b64_tr_b16 a[192:193], v10 offset:6144             // 00000000791C: DBC61800 C000000A
	ds_read_b64_tr_b16 a[194:195], v10 offset:6400             // 000000007924: DBC61900 C200000A
	ds_read_b64_tr_b16 a[196:197], v11 offset:6144             // 00000000792C: DBC61800 C400000B
	ds_read_b64_tr_b16 a[198:199], v11 offset:6400             // 000000007934: DBC61900 C600000B
	ds_read_b64_tr_b16 a[200:201], v10 offset:7168             // 00000000793C: DBC61C00 C800000A
	ds_read_b64_tr_b16 a[202:203], v10 offset:7424             // 000000007944: DBC61D00 CA00000A
	ds_read_b64_tr_b16 a[204:205], v11 offset:7168             // 00000000794C: DBC61C00 CC00000B
	ds_read_b64_tr_b16 a[206:207], v11 offset:7424             // 000000007954: DBC61D00 CE00000B
	v_mov_b32_e32 v30, v16                                     // 00000000795C: 7E3C0310
	v_mov_b32_e32 v31, v16                                     // 000000007960: 7E3E0310
	v_pk_mul_f32 v[80:81], v[30:31], v[80:81]                  // 000000007964: D3B14050 1802A11E
	v_pk_mul_f32 v[82:83], v[30:31], v[82:83]                  // 00000000796C: D3B14052 1802A51E
	v_pk_mul_f32 v[84:85], v[30:31], v[84:85]                  // 000000007974: D3B14054 1802A91E
	v_pk_mul_f32 v[86:87], v[30:31], v[86:87]                  // 00000000797C: D3B14056 1802AD1E
	v_pk_mul_f32 v[88:89], v[30:31], v[88:89]                  // 000000007984: D3B14058 1802B11E
	v_pk_mul_f32 v[90:91], v[30:31], v[90:91]                  // 00000000798C: D3B1405A 1802B51E
	v_pk_mul_f32 v[92:93], v[30:31], v[92:93]                  // 000000007994: D3B1405C 1802B91E
	v_pk_mul_f32 v[94:95], v[30:31], v[94:95]                  // 00000000799C: D3B1405E 1802BD1E
	v_pk_mul_f32 v[96:97], v[30:31], v[96:97]                  // 0000000079A4: D3B14060 1802C11E
	v_pk_mul_f32 v[98:99], v[30:31], v[98:99]                  // 0000000079AC: D3B14062 1802C51E
	v_pk_mul_f32 v[100:101], v[30:31], v[100:101]              // 0000000079B4: D3B14064 1802C91E
	v_pk_mul_f32 v[102:103], v[30:31], v[102:103]              // 0000000079BC: D3B14066 1802CD1E
	v_pk_mul_f32 v[104:105], v[30:31], v[104:105]              // 0000000079C4: D3B14068 1802D11E
	v_pk_mul_f32 v[106:107], v[30:31], v[106:107]              // 0000000079CC: D3B1406A 1802D51E
	v_pk_mul_f32 v[108:109], v[30:31], v[108:109]              // 0000000079D4: D3B1406C 1802D91E
	v_pk_mul_f32 v[110:111], v[30:31], v[110:111]              // 0000000079DC: D3B1406E 1802DD1E
	v_pk_mul_f32 v[112:113], v[30:31], v[112:113]              // 0000000079E4: D3B14070 1802E11E
	v_pk_mul_f32 v[114:115], v[30:31], v[114:115]              // 0000000079EC: D3B14072 1802E51E
	v_pk_mul_f32 v[116:117], v[30:31], v[116:117]              // 0000000079F4: D3B14074 1802E91E
	v_pk_mul_f32 v[118:119], v[30:31], v[118:119]              // 0000000079FC: D3B14076 1802ED1E
	v_pk_mul_f32 v[120:121], v[30:31], v[120:121]              // 000000007A04: D3B14078 1802F11E
	v_pk_mul_f32 v[122:123], v[30:31], v[122:123]              // 000000007A0C: D3B1407A 1802F51E
	v_pk_mul_f32 v[124:125], v[30:31], v[124:125]              // 000000007A14: D3B1407C 1802F91E
	v_pk_mul_f32 v[126:127], v[30:31], v[126:127]              // 000000007A1C: D3B1407E 1802FD1E
	v_pk_mul_f32 v[128:129], v[30:31], v[128:129]              // 000000007A24: D3B14080 1803011E
	v_pk_mul_f32 v[130:131], v[30:31], v[130:131]              // 000000007A2C: D3B14082 1803051E
	v_pk_mul_f32 v[132:133], v[30:31], v[132:133]              // 000000007A34: D3B14084 1803091E
	v_pk_mul_f32 v[134:135], v[30:31], v[134:135]              // 000000007A3C: D3B14086 18030D1E
	v_pk_mul_f32 v[136:137], v[30:31], v[136:137]              // 000000007A44: D3B14088 1803111E
	v_pk_mul_f32 v[138:139], v[30:31], v[138:139]              // 000000007A4C: D3B1408A 1803151E
	v_pk_mul_f32 v[140:141], v[30:31], v[140:141]              // 000000007A54: D3B1408C 1803191E
	v_pk_mul_f32 v[142:143], v[30:31], v[142:143]              // 000000007A5C: D3B1408E 18031D1E
	v_pk_mul_f32 v[144:145], v[30:31], v[144:145]              // 000000007A64: D3B14090 1803211E
	v_pk_mul_f32 v[146:147], v[30:31], v[146:147]              // 000000007A6C: D3B14092 1803251E
	v_pk_mul_f32 v[148:149], v[30:31], v[148:149]              // 000000007A74: D3B14094 1803291E
	v_pk_mul_f32 v[150:151], v[30:31], v[150:151]              // 000000007A7C: D3B14096 18032D1E
	v_pk_mul_f32 v[152:153], v[30:31], v[152:153]              // 000000007A84: D3B14098 1803311E
	v_pk_mul_f32 v[154:155], v[30:31], v[154:155]              // 000000007A8C: D3B1409A 1803351E
	v_pk_mul_f32 v[156:157], v[30:31], v[156:157]              // 000000007A94: D3B1409C 1803391E
	v_pk_mul_f32 v[158:159], v[30:31], v[158:159]              // 000000007A9C: D3B1409E 18033D1E
	v_pk_mul_f32 v[160:161], v[30:31], v[160:161]              // 000000007AA4: D3B140A0 1803411E
	v_pk_mul_f32 v[162:163], v[30:31], v[162:163]              // 000000007AAC: D3B140A2 1803451E
	v_pk_mul_f32 v[164:165], v[30:31], v[164:165]              // 000000007AB4: D3B140A4 1803491E
	v_pk_mul_f32 v[166:167], v[30:31], v[166:167]              // 000000007ABC: D3B140A6 18034D1E
	v_pk_mul_f32 v[168:169], v[30:31], v[168:169]              // 000000007AC4: D3B140A8 1803511E
	v_pk_mul_f32 v[170:171], v[30:31], v[170:171]              // 000000007ACC: D3B140AA 1803551E
	v_pk_mul_f32 v[172:173], v[30:31], v[172:173]              // 000000007AD4: D3B140AC 1803591E
	v_pk_mul_f32 v[174:175], v[30:31], v[174:175]              // 000000007ADC: D3B140AE 18035D1E
	v_pk_mul_f32 v[176:177], v[30:31], v[176:177]              // 000000007AE4: D3B140B0 1803611E
	v_mfma_f32_16x16x32_bf16 v[38:41], a[140:143], a[68:71], v[38:41]// 000000007AEC: D3B50026 1C9A898C
	s_addk_i32 s70, 0x1                                        // 000000007AF4: B7460001
	s_cmp_lt_i32 s70, s71                                      // 000000007AF8: BF044746
	s_cbranch_scc0 label_39A4                                  // 000000007AFC: BF84F8E9
	s_waitcnt lgkmcnt(0)                                       // 000000007B00: BF8CC07F
	v_mul_u32_u24_e64 v32, v25, s68                            // 000000007B04: D1080020 00008919
	v_add_u32_e32 v32, v32, v1                                 // 000000007B0C: 68400320
	v_mfma_f32_16x16x32_bf16 v[50:53], a[144:147], v[42:45], v[50:53]// 000000007B10: D3B50032 0CCA5590
	v_mov_b32_e32 v29, v34                                     // 000000007B18: 7E3A0322
	v_max3_f32 v29, v34, v35, v29                              // 000000007B1C: D1D3001D 04764722
	v_mfma_f32_16x16x32_bf16 v[54:57], a[148:151], v[42:45], v[54:57]// 000000007B24: D3B50036 0CDA5594
	ds_read_b64_tr_b16 a[144:145], v10 offset:8192             // 000000007B2C: DBC62000 9000000A
	ds_read_b64_tr_b16 a[146:147], v10 offset:8448             // 000000007B34: DBC62100 9200000A
	v_mfma_f32_16x16x32_bf16 v[58:61], a[152:155], v[42:45], v[58:61]// 000000007B3C: D3B5003A 0CEA5598
	v_max3_f32 v29, v36, v37, v29                              // 000000007B44: D1D3001D 04764B24
	v_max3_f32 v29, v38, v39, v29                              // 000000007B4C: D1D3001D 04764F26
	v_mfma_f32_16x16x32_bf16 v[62:65], a[156:159], v[42:45], v[62:65]// 000000007B54: D3B5003E 0CFA559C
	ds_read_b64_tr_b16 a[148:149], v11 offset:8192             // 000000007B5C: DBC62000 9400000B
	ds_read_b64_tr_b16 a[150:151], v11 offset:8448             // 000000007B64: DBC62100 9600000B
	v_mfma_f32_16x16x32_bf16 v[66:69], a[160:163], v[42:45], v[66:69]// 000000007B6C: D3B50042 0D0A55A0
	v_max3_f32 v29, v40, v41, v29                              // 000000007B74: D1D3001D 04765328
	v_mov_b32_e32 v28, v29                                     // 000000007B7C: 7E38031D
	v_mfma_f32_16x16x32_bf16 v[70:73], a[164:167], v[42:45], v[70:73]// 000000007B80: D3B50046 0D1A55A4
	ds_read_b64_tr_b16 a[152:153], v10 offset:9216             // 000000007B88: DBC62400 9800000A
	ds_read_b64_tr_b16 a[154:155], v10 offset:9472             // 000000007B90: DBC62500 9A00000A
	v_mfma_f32_16x16x32_bf16 v[74:77], a[168:171], v[42:45], v[74:77]// 000000007B98: D3B5004A 0D2A55A8
	v_mov_b32_e32 v29, v29                                     // 000000007BA0: 7E3A031D
	s_nop 1                                                    // 000000007BA4: BF800001
	v_mfma_f32_16x16x32_bf16 v[78:81], a[172:175], v[42:45], v[78:81]// 000000007BA8: D3B5004E 0D3A55AC
	ds_read_b64_tr_b16 a[156:157], v11 offset:9216             // 000000007BB0: DBC62400 9C00000B
	ds_read_b64_tr_b16 a[158:159], v11 offset:9472             // 000000007BB8: DBC62500 9E00000B
	v_mfma_f32_16x16x32_bf16 v[82:85], a[176:179], v[42:45], v[82:85]// 000000007BC0: D3B50052 0D4A55B0
	v_permlane16_swap_b32_e32 v28, v29                         // 000000007BC8: 7E38B31D
	v_mfma_f32_16x16x32_bf16 v[86:89], a[180:183], v[42:45], v[86:89]// 000000007BCC: D3B50056 0D5A55B4
	ds_read_b64_tr_b16 a[160:161], v10 offset:10240            // 000000007BD4: DBC62800 A000000A
	ds_read_b64_tr_b16 a[162:163], v10 offset:10496            // 000000007BDC: DBC62900 A200000A
	v_mfma_f32_16x16x32_bf16 v[90:93], a[184:187], v[42:45], v[90:93]// 000000007BE4: D3B5005A 0D6A55B8
	v_mov_b32_e32 v31, v28                                     // 000000007BEC: 7E3E031C
	v_mov_b32_e32 v30, v29                                     // 000000007BF0: 7E3C031D
	v_mfma_f32_16x16x32_bf16 v[94:97], a[188:191], v[42:45], v[94:97]// 000000007BF4: D3B5005E 0D7A55BC
	ds_read_b64_tr_b16 a[164:165], v11 offset:10240            // 000000007BFC: DBC62800 A400000B
	ds_read_b64_tr_b16 a[166:167], v11 offset:10496            // 000000007C04: DBC62900 A600000B
	v_mfma_f32_16x16x32_bf16 v[98:101], a[192:195], v[42:45], v[98:101]// 000000007C0C: D3B50062 0D8A55C0
	s_nop 1                                                    // 000000007C14: BF800001
	v_permlane32_swap_b32_e32 v28, v29                         // 000000007C18: 7E38B51D
	v_mfma_f32_16x16x32_bf16 v[102:105], a[196:199], v[42:45], v[102:105]// 000000007C1C: D3B50066 0D9A55C4
	ds_read_b64_tr_b16 a[168:169], v10 offset:11264            // 000000007C24: DBC62C00 A800000A
	ds_read_b64_tr_b16 a[170:171], v10 offset:11520            // 000000007C2C: DBC62D00 AA00000A
	v_mfma_f32_16x16x32_bf16 v[106:109], a[200:203], v[42:45], v[106:109]// 000000007C34: D3B5006A 0DAA55C8
	v_permlane32_swap_b32_e32 v30, v31                         // 000000007C3C: 7E3CB51F
	v_mfma_f32_16x16x32_bf16 v[110:113], a[204:207], v[42:45], v[110:113]// 000000007C40: D3B5006E 0DBA55CC
	ds_read_b64_tr_b16 a[172:173], v11 offset:11264            // 000000007C48: DBC62C00 AC00000B
	ds_read_b64_tr_b16 a[174:175], v11 offset:11520            // 000000007C50: DBC62D00 AE00000B
	ds_read_b64_tr_b16 a[176:177], v10 offset:12288            // 000000007C58: DBC63000 B000000A
	ds_read_b64_tr_b16 a[178:179], v10 offset:12544            // 000000007C60: DBC63100 B200000A
	ds_read_b64_tr_b16 a[180:181], v11 offset:12288            // 000000007C68: DBC63000 B400000B
	ds_read_b64_tr_b16 a[182:183], v11 offset:12544            // 000000007C70: DBC63100 B600000B
	ds_read_b64_tr_b16 a[184:185], v10 offset:13312            // 000000007C78: DBC63400 B800000A
	ds_read_b64_tr_b16 a[186:187], v10 offset:13568            // 000000007C80: DBC63500 BA00000A
	ds_read_b64_tr_b16 a[188:189], v11 offset:13312            // 000000007C88: DBC63400 BC00000B
	ds_read_b64_tr_b16 a[190:191], v11 offset:13568            // 000000007C90: DBC63500 BE00000B
	s_waitcnt lgkmcnt(0)                                       // 000000007C98: BF8CC07F
	v_mfma_f32_16x16x32_bf16 v[114:117], a[144:147], v[42:45], v[114:117]// 000000007C9C: D3B50072 0DCA5590
	ds_read_b64_tr_b16 a[192:193], v10 offset:14336            // 000000007CA4: DBC63800 C000000A
	ds_read_b64_tr_b16 a[194:195], v10 offset:14592            // 000000007CAC: DBC63900 C200000A
	v_mfma_f32_16x16x32_bf16 v[118:121], a[148:151], v[42:45], v[118:121]// 000000007CB4: D3B50076 0DDA5594
	s_waitcnt vmcnt(10)                                        // 000000007CBC: BF8C0F7A
	s_barrier                                                  // 000000007CC0: BF8A0000
	ds_read_b128 a[72:75], v21                                 // 000000007CC4: DBFE0000 48000015
	ds_read_b128 a[76:79], v21 offset:1024                     // 000000007CCC: DBFE0400 4C000015
	v_mfma_f32_16x16x32_bf16 v[122:125], a[152:155], v[42:45], v[122:125]// 000000007CD4: D3B5007A 0DEA5598
	ds_read_b64_tr_b16 a[196:197], v11 offset:14336            // 000000007CDC: DBC63800 C400000B
	ds_read_b64_tr_b16 a[198:199], v11 offset:14592            // 000000007CE4: DBC63900 C600000B
	v_mfma_f32_16x16x32_bf16 v[126:129], a[156:159], v[42:45], v[126:129]// 000000007CEC: D3B5007E 0DFA559C
	ds_read_b128 a[80:83], v21 offset:2048                     // 000000007CF4: DBFE0800 50000015
	ds_read_b128 a[84:87], v21 offset:3072                     // 000000007CFC: DBFE0C00 54000015
	v_mfma_f32_16x16x32_bf16 v[130:133], a[160:163], v[42:45], v[130:133]// 000000007D04: D3B50082 0E0A55A0
	ds_read_b64_tr_b16 a[200:201], v10 offset:15360            // 000000007D0C: DBC63C00 C800000A
	ds_read_b64_tr_b16 a[202:203], v10 offset:15616            // 000000007D14: DBC63D00 CA00000A
	v_mfma_f32_16x16x32_bf16 v[134:137], a[164:167], v[42:45], v[134:137]// 000000007D1C: D3B50086 0E1A55A4
	ds_read_b128 a[88:91], v21 offset:4096                     // 000000007D24: DBFE1000 58000015
	ds_read_b128 a[92:95], v21 offset:5120                     // 000000007D2C: DBFE1400 5C000015
	v_mfma_f32_16x16x32_bf16 v[138:141], a[168:171], v[42:45], v[138:141]// 000000007D34: D3B5008A 0E2A55A8
	ds_read_b64_tr_b16 a[204:205], v11 offset:15360            // 000000007D3C: DBC63C00 CC00000B
	ds_read_b64_tr_b16 a[206:207], v11 offset:15616            // 000000007D44: DBC63D00 CE00000B
	v_mfma_f32_16x16x32_bf16 v[142:145], a[172:175], v[42:45], v[142:145]// 000000007D4C: D3B5008E 0E3A55AC
	ds_read_b128 a[96:99], v21 offset:6144                     // 000000007D54: DBFE1800 60000015
	ds_read_b128 a[100:103], v21 offset:7168                   // 000000007D5C: DBFE1C00 64000015
	v_mfma_f32_16x16x32_bf16 v[146:149], a[176:179], v[42:45], v[146:149]// 000000007D64: D3B50092 0E4A55B0
	v_max3_f32 v29, v28, v29, v29                              // 000000007D6C: D1D3001D 04763B1C
	v_max3_f32 v29, v30, v31, v29                              // 000000007D74: D1D3001D 04763F1E
	v_mfma_f32_16x16x32_bf16 v[150:153], a[180:183], v[42:45], v[150:153]// 000000007D7C: D3B50096 0E5A55B4
	ds_read_b128 a[104:107], v21 offset:8192                   // 000000007D84: DBFE2000 68000015
	ds_read_b128 a[108:111], v21 offset:9216                   // 000000007D8C: DBFE2400 6C000015
	v_mfma_f32_16x16x32_bf16 v[154:157], a[184:187], v[42:45], v[154:157]// 000000007D94: D3B5009A 0E6A55B8
	v_mov_b32_e32 v28, 0xff800000                              // 000000007D9C: 7E3802FF FF800000
	v_cmp_eq_u32_e64 s[36:37], v28, v2                         // 000000007DA4: D0CA0024 0002051C
	v_mfma_f32_16x16x32_bf16 v[158:161], a[188:191], v[42:45], v[158:161]// 000000007DAC: D3B5009E 0E7A55BC
	ds_read_b128 a[112:115], v21 offset:10240                  // 000000007DB4: DBFE2800 70000015
	ds_read_b128 a[116:119], v21 offset:11264                  // 000000007DBC: DBFE2C00 74000015
	v_mfma_f32_16x16x32_bf16 v[162:165], a[192:195], v[42:45], v[162:165]// 000000007DC4: D3B500A2 0E8A55C0
	v_max_f32_e32 v29, v29, v2                                 // 000000007DCC: 163A051D
	v_sub_f32_e32 v16, v2, v29                                 // 000000007DD0: 04203B02
	v_mfma_f32_16x16x32_bf16 v[166:169], a[196:199], v[42:45], v[166:169]// 000000007DD4: D3B500A6 0E9A55C4
	ds_read_b128 a[120:123], v21 offset:12288                  // 000000007DDC: DBFE3000 78000015
	ds_read_b128 a[124:127], v21 offset:13312                  // 000000007DE4: DBFE3400 7C000015
	v_mfma_f32_16x16x32_bf16 v[170:173], a[200:203], v[42:45], v[170:173]// 000000007DEC: D3B500AA 0EAA55C8
	v_cndmask_b32_e64 v16, v16, 0, s[36:37]                    // 000000007DF4: D1000010 00910110
	v_mov_b32_e32 v2, v29                                      // 000000007DFC: 7E04031D
	v_mfma_f32_16x16x32_bf16 v[174:177], a[204:207], v[42:45], v[174:177]// 000000007E00: D3B500AE 0EBA55CC
	ds_read_b128 a[128:131], v21 offset:14336                  // 000000007E08: DBFE3800 80000015
	ds_read_b128 a[132:135], v21 offset:15360                  // 000000007E10: DBFE3C00 84000015
	ds_read_b128 a[136:139], v21 offset:16384                  // 000000007E18: DBFE4000 88000015
	ds_read_b128 a[140:143], v21 offset:17408                  // 000000007E20: DBFE4400 8C000015
	s_waitcnt lgkmcnt(0)                                       // 000000007E28: BF8CC07F
	v_mfma_f32_16x16x32_bf16 v[42:45], a[72:75], a[0:3], 0     // 000000007E2C: D3B5002A 1A020148
	buffer_load_dword v23, v26, s[24:27], 0 offen              // 000000007E34: E0501000 8006171A
	v_mul_f32_e32 v29, s5, v29                                 // 000000007E3C: 0A3A3A05
	s_mov_b32 s56, 0xb000                                      // 000000007E40: BEB800FF 0000B000
	s_mul_i32 s57, s7, 0x2400                                  // 000000007E48: 9239FF07 00002400
	s_add_u32 m0, s56, s57                                     // 000000007E50: 807C3938
	buffer_load_dwordx4 v32, s[20:23], 0 offen lds             // 000000007E54: E05D1000 80050020
	s_add_i32 m0, m0, 0x3c0                                    // 000000007E5C: 817CFF7C 000003C0
	v_mfma_f32_16x16x32_bf16 v[42:45], a[76:79], a[4:7], v[42:45]// 000000007E64: D3B5002A 1CAA094C
	buffer_load_dwordx4 v32, s[20:23], 0 offen offset:64 lds   // 000000007E6C: E05D1040 80050020
	s_add_i32 m0, m0, 0x3c0                                    // 000000007E74: 817CFF7C 000003C0
	v_mfma_f32_16x16x32_bf16 v[42:45], a[80:83], a[8:11], v[42:45]// 000000007E7C: D3B5002A 1CAA1150
	v_mul_f32_e32 v16, s5, v16                                 // 000000007E84: 0A202005
	v_exp_f32_e32 v16, v16                                     // 000000007E88: 7E204110
	v_mfma_f32_16x16x32_bf16 v[42:45], a[84:87], a[12:15], v[42:45]// 000000007E8C: D3B5002A 1CAA1954
	v_add_u32_e32 v26, s73, v26                                // 000000007E94: 68343449
	ds_read_b128 a[72:75], v21 offset:18432                    // 000000007E98: DBFE4800 48000015
	ds_read_b128 a[76:79], v21 offset:19456                    // 000000007EA0: DBFE4C00 4C000015
	v_fma_f32 v34, v34, s5, -v29                               // 000000007EA8: D1CB0022 84740B22
	v_mfma_f32_16x16x32_bf16 v[42:45], a[88:91], a[16:19], v[42:45]// 000000007EB0: D3B5002A 1CAA2158
	ds_read_b128 a[80:83], v21 offset:20480                    // 000000007EB8: DBFE5000 50000015
	ds_read_b128 a[84:87], v21 offset:21504                    // 000000007EC0: DBFE5400 54000015
	v_fma_f32 v35, v35, s5, -v29                               // 000000007EC8: D1CB0023 84740B23
	v_mfma_f32_16x16x32_bf16 v[42:45], a[92:95], a[20:23], v[42:45]// 000000007ED0: D3B5002A 1CAA295C
	buffer_load_dwordx4 v32, s[20:23], 0 offen offset:128 lds  // 000000007ED8: E05D1080 80050020
	s_add_i32 m0, m0, 0x3c0                                    // 000000007EE0: 817CFF7C 000003C0
	v_mfma_f32_16x16x32_bf16 v[42:45], a[96:99], a[24:27], v[42:45]// 000000007EE8: D3B5002A 1CAA3160
	v_fma_f32 v36, v36, s5, -v29                               // 000000007EF0: D1CB0024 84740B24
	v_fma_f32 v37, v37, s5, -v29                               // 000000007EF8: D1CB0025 84740B25
	v_mfma_f32_16x16x32_bf16 v[42:45], a[100:103], a[28:31], v[42:45]// 000000007F00: D3B5002A 1CAA3964
	ds_read_b128 a[88:91], v21 offset:22528                    // 000000007F08: DBFE5800 58000015
	ds_read_b128 a[92:95], v21 offset:23552                    // 000000007F10: DBFE5C00 5C000015
	v_fma_f32 v38, v38, s5, -v29                               // 000000007F18: D1CB0026 84740B26
	v_mfma_f32_16x16x32_bf16 v[42:45], a[104:107], a[32:35], v[42:45]// 000000007F20: D3B5002A 1CAA4168
	ds_read_b128 a[96:99], v21 offset:24576                    // 000000007F28: DBFE6000 60000015
	ds_read_b128 a[100:103], v21 offset:25600                  // 000000007F30: DBFE6400 64000015
	v_fma_f32 v39, v39, s5, -v29                               // 000000007F38: D1CB0027 84740B27
	v_mfma_f32_16x16x32_bf16 v[42:45], a[108:111], a[36:39], v[42:45]// 000000007F40: D3B5002A 1CAA496C
	buffer_load_dwordx4 v32, s[20:23], 0 offen offset:192 lds  // 000000007F48: E05D10C0 80050020
	s_add_i32 m0, m0, 0x3c0                                    // 000000007F50: 817CFF7C 000003C0
	v_mfma_f32_16x16x32_bf16 v[42:45], a[112:115], a[40:43], v[42:45]// 000000007F58: D3B5002A 1CAA5170
	v_fma_f32 v40, v40, s5, -v29                               // 000000007F60: D1CB0028 84740B28
	v_fma_f32 v41, v41, s5, -v29                               // 000000007F68: D1CB0029 84740B29
	v_mfma_f32_16x16x32_bf16 v[42:45], a[116:119], a[44:47], v[42:45]// 000000007F70: D3B5002A 1CAA5974
	v_exp_f32_e32 v34, v34                                     // 000000007F78: 7E444122
	v_mfma_f32_16x16x32_bf16 v[42:45], a[120:123], a[48:51], v[42:45]// 000000007F7C: D3B5002A 1CAA6178
	ds_read_b128 a[104:107], v21 offset:26624                  // 000000007F84: DBFE6800 68000015
	ds_read_b128 a[108:111], v21 offset:27648                  // 000000007F8C: DBFE6C00 6C000015
	v_exp_f32_e32 v35, v35                                     // 000000007F94: 7E464123
	v_mfma_f32_16x16x32_bf16 v[42:45], a[124:127], a[52:55], v[42:45]// 000000007F98: D3B5002A 1CAA697C
	buffer_load_dwordx4 v32, s[20:23], 0 offen offset:256 lds  // 000000007FA0: E05D1100 80050020
	s_add_i32 m0, m0, 0x3c0                                    // 000000007FA8: 817CFF7C 000003C0
	v_mfma_f32_16x16x32_bf16 v[42:45], a[128:131], a[56:59], v[42:45]// 000000007FB0: D3B5002A 1CAA7180
	v_exp_f32_e32 v36, v36                                     // 000000007FB8: 7E484124
	v_mfma_f32_16x16x32_bf16 v[42:45], a[132:135], a[60:63], v[42:45]// 000000007FBC: D3B5002A 1CAA7984
	ds_read_b128 a[112:115], v21 offset:28672                  // 000000007FC4: DBFE7000 70000015
	ds_read_b128 a[116:119], v21 offset:29696                  // 000000007FCC: DBFE7400 74000015
	v_exp_f32_e32 v37, v37                                     // 000000007FD4: 7E4A4125
	v_mfma_f32_16x16x32_bf16 v[42:45], a[136:139], a[64:67], v[42:45]// 000000007FD8: D3B5002A 1CAA8188
	ds_read_b128 a[120:123], v21 offset:30720                  // 000000007FE0: DBFE7800 78000015
	ds_read_b128 a[124:127], v21 offset:31744                  // 000000007FE8: DBFE7C00 7C000015
	v_exp_f32_e32 v38, v38                                     // 000000007FF0: 7E4C4126
	v_mfma_f32_16x16x32_bf16 v[42:45], a[140:143], a[68:71], v[42:45]// 000000007FF4: D3B5002A 1CAA898C
	ds_read_b128 a[128:131], v21 offset:32768                  // 000000007FFC: DBFE8000 80000015
	ds_read_b128 a[132:135], v21 offset:33792                  // 000000008004: DBFE8400 84000015
	v_exp_f32_e32 v39, v39                                     // 00000000800C: 7E4E4127
	ds_read_b128 a[136:139], v21 offset:34816                  // 000000008010: DBFE8800 88000015
	ds_read_b128 a[140:143], v21 offset:35840                  // 000000008018: DBFE8C00 8C000015
	v_exp_f32_e32 v40, v40                                     // 000000008020: 7E504128
	v_exp_f32_e32 v41, v41                                     // 000000008024: 7E524129
	v_mul_f32_e32 v4, v16, v4                                  // 000000008028: 0A080910
	v_mov_b32_e32 v28, v34                                     // 00000000802C: 7E380322
	v_add_f32_e32 v28, v35, v28                                // 000000008030: 02383923
	v_add_f32_e32 v28, v36, v28                                // 000000008034: 02383924
	;; [unrolled: 1-line block ×3, first 2 shown]
	v_add_f32_e32 v28, v38, v28                                // 00000000803C: 02383926
	v_add_f32_e32 v28, v39, v28                                // 000000008040: 02383927
	v_add_f32_e32 v28, v40, v28                                // 000000008044: 02383928
	;; [unrolled: 1-line block ×3, first 2 shown]
	v_add_f32_e32 v4, v28, v4                                  // 00000000804C: 0208091C
	v_cvt_pk_bf16_f32 v34, v34, v35                            // 000000008050: D2680022 00024722
	v_cvt_pk_bf16_f32 v35, v36, v37                            // 000000008058: D2680023 00024B24
	v_cvt_pk_bf16_f32 v36, v38, v39                            // 000000008060: D2680024 00024F26
	v_cvt_pk_bf16_f32 v37, v40, v41                            // 000000008068: D2680025 00025328
	s_nop 0                                                    // 000000008070: BF800000
	v_permlane32_swap_b32_e32 v34, v36                         // 000000008074: 7E44B524
	v_permlane32_swap_b32_e32 v35, v37                         // 000000008078: 7E46B525
	s_nop 0                                                    // 00000000807C: BF800000
	v_permlane16_swap_b32_e32 v34, v36                         // 000000008080: 7E44B324
	v_permlane16_swap_b32_e32 v35, v37                         // 000000008084: 7E46B325
	s_waitcnt lgkmcnt(0)                                       // 000000008088: BF8CC07F
	v_mfma_f32_16x16x32_bf16 v[46:49], a[72:75], a[0:3], 0     // 00000000808C: D3B5002E 1A020148
	v_mul_f32_e32 v50, v16, v50                                // 000000008094: 0A646510
	v_mul_f32_e32 v51, v16, v51                                // 000000008098: 0A666710
	ds_read_b64_tr_b16 a[144:145], v12                         // 00000000809C: DBC60000 9000000C
	ds_read_b64_tr_b16 a[146:147], v12 offset:256              // 0000000080A4: DBC60100 9200000C
	v_mfma_f32_16x16x32_bf16 v[46:49], a[76:79], a[4:7], v[46:49]// 0000000080AC: D3B5002E 1CBA094C
	buffer_load_dwordx4 v32, s[20:23], 0 offen offset:320 lds  // 0000000080B4: E05D1140 80050020
	s_add_i32 m0, m0, 0x3c0                                    // 0000000080BC: 817CFF7C 000003C0
	v_mul_f32_e32 v52, v16, v52                                // 0000000080C4: 0A686910
	v_mul_f32_e32 v53, v16, v53                                // 0000000080C8: 0A6A6B10
	v_mfma_f32_16x16x32_bf16 v[46:49], a[80:83], a[8:11], v[46:49]// 0000000080CC: D3B5002E 1CBA1150
	v_mul_f32_e32 v54, v16, v54                                // 0000000080D4: 0A6C6D10
	v_mul_f32_e32 v55, v16, v55                                // 0000000080D8: 0A6E6F10
	ds_read_b64_tr_b16 a[148:149], v13                         // 0000000080DC: DBC60000 9400000D
	ds_read_b64_tr_b16 a[150:151], v13 offset:256              // 0000000080E4: DBC60100 9600000D
	v_mfma_f32_16x16x32_bf16 v[46:49], a[84:87], a[12:15], v[46:49]// 0000000080EC: D3B5002E 1CBA1954
	v_mul_f32_e32 v56, v16, v56                                // 0000000080F4: 0A707110
	v_mul_f32_e32 v57, v16, v57                                // 0000000080F8: 0A727310
	ds_read_b64_tr_b16 a[152:153], v12 offset:1024             // 0000000080FC: DBC60400 9800000C
	ds_read_b64_tr_b16 a[154:155], v12 offset:1280             // 000000008104: DBC60500 9A00000C
	v_mfma_f32_16x16x32_bf16 v[46:49], a[88:91], a[16:19], v[46:49]// 00000000810C: D3B5002E 1CBA2158
	v_mul_f32_e32 v58, v16, v58                                // 000000008114: 0A747510
	v_mul_f32_e32 v59, v16, v59                                // 000000008118: 0A767710
	ds_read_b64_tr_b16 a[156:157], v13 offset:1024             // 00000000811C: DBC60400 9C00000D
	ds_read_b64_tr_b16 a[158:159], v13 offset:1280             // 000000008124: DBC60500 9E00000D
	v_mfma_f32_16x16x32_bf16 v[46:49], a[92:95], a[20:23], v[46:49]// 00000000812C: D3B5002E 1CBA295C
	v_mul_f32_e32 v60, v16, v60                                // 000000008134: 0A787910
	v_mul_f32_e32 v61, v16, v61                                // 000000008138: 0A7A7B10
	ds_read_b64_tr_b16 a[160:161], v12 offset:2048             // 00000000813C: DBC60800 A000000C
	ds_read_b64_tr_b16 a[162:163], v12 offset:2304             // 000000008144: DBC60900 A200000C
	v_mfma_f32_16x16x32_bf16 v[46:49], a[96:99], a[24:27], v[46:49]// 00000000814C: D3B5002E 1CBA3160
	v_mul_f32_e32 v62, v16, v62                                // 000000008154: 0A7C7D10
	v_mul_f32_e32 v63, v16, v63                                // 000000008158: 0A7E7F10
	ds_read_b64_tr_b16 a[164:165], v13 offset:2048             // 00000000815C: DBC60800 A400000D
	ds_read_b64_tr_b16 a[166:167], v13 offset:2304             // 000000008164: DBC60900 A600000D
	v_mfma_f32_16x16x32_bf16 v[46:49], a[100:103], a[28:31], v[46:49]// 00000000816C: D3B5002E 1CBA3964
	buffer_load_dwordx4 v32, s[20:23], 0 offen offset:384 lds  // 000000008174: E05D1180 80050020
	s_add_i32 m0, m0, 0x3c0                                    // 00000000817C: 817CFF7C 000003C0
	v_mfma_f32_16x16x32_bf16 v[46:49], a[104:107], a[32:35], v[46:49]// 000000008184: D3B5002E 1CBA4168
	v_mul_f32_e32 v64, v16, v64                                // 00000000818C: 0A808110
	v_mul_f32_e32 v65, v16, v65                                // 000000008190: 0A828310
	ds_read_b64_tr_b16 a[168:169], v12 offset:3072             // 000000008194: DBC60C00 A800000C
	ds_read_b64_tr_b16 a[170:171], v12 offset:3328             // 00000000819C: DBC60D00 AA00000C
	v_mfma_f32_16x16x32_bf16 v[46:49], a[108:111], a[36:39], v[46:49]// 0000000081A4: D3B5002E 1CBA496C
	v_mul_f32_e32 v66, v16, v66                                // 0000000081AC: 0A848510
	v_mul_f32_e32 v67, v16, v67                                // 0000000081B0: 0A868710
	ds_read_b64_tr_b16 a[172:173], v13 offset:3072             // 0000000081B4: DBC60C00 AC00000D
	ds_read_b64_tr_b16 a[174:175], v13 offset:3328             // 0000000081BC: DBC60D00 AE00000D
	v_mfma_f32_16x16x32_bf16 v[46:49], a[112:115], a[40:43], v[46:49]// 0000000081C4: D3B5002E 1CBA5170
	v_mul_f32_e32 v68, v16, v68                                // 0000000081CC: 0A888910
	v_mul_f32_e32 v69, v16, v69                                // 0000000081D0: 0A8A8B10
	ds_read_b64_tr_b16 a[176:177], v12 offset:4096             // 0000000081D4: DBC61000 B000000C
	ds_read_b64_tr_b16 a[178:179], v12 offset:4352             // 0000000081DC: DBC61100 B200000C
	v_mfma_f32_16x16x32_bf16 v[46:49], a[116:119], a[44:47], v[46:49]// 0000000081E4: D3B5002E 1CBA5974
	buffer_load_dwordx4 v32, s[20:23], 0 offen offset:448 lds  // 0000000081EC: E05D11C0 80050020
	s_add_i32 m0, m0, 0x3c0                                    // 0000000081F4: 817CFF7C 000003C0
	v_mul_f32_e32 v70, v16, v70                                // 0000000081FC: 0A8C8D10
	v_mul_f32_e32 v71, v16, v71                                // 000000008200: 0A8E8F10
	v_mfma_f32_16x16x32_bf16 v[46:49], a[120:123], a[48:51], v[46:49]// 000000008204: D3B5002E 1CBA6178
	v_mul_f32_e32 v72, v16, v72                                // 00000000820C: 0A909110
	v_mul_f32_e32 v73, v16, v73                                // 000000008210: 0A929310
	ds_read_b64_tr_b16 a[180:181], v13 offset:4096             // 000000008214: DBC61000 B400000D
	ds_read_b64_tr_b16 a[182:183], v13 offset:4352             // 00000000821C: DBC61100 B600000D
	v_mfma_f32_16x16x32_bf16 v[46:49], a[124:127], a[52:55], v[46:49]// 000000008224: D3B5002E 1CBA697C
	v_mul_f32_e32 v74, v16, v74                                // 00000000822C: 0A949510
	v_mul_f32_e32 v75, v16, v75                                // 000000008230: 0A969710
	ds_read_b64_tr_b16 a[184:185], v12 offset:5120             // 000000008234: DBC61400 B800000C
	ds_read_b64_tr_b16 a[186:187], v12 offset:5376             // 00000000823C: DBC61500 BA00000C
	v_mfma_f32_16x16x32_bf16 v[46:49], a[128:131], a[56:59], v[46:49]// 000000008244: D3B5002E 1CBA7180
	v_mul_f32_e32 v76, v16, v76                                // 00000000824C: 0A989910
	v_mul_f32_e32 v77, v16, v77                                // 000000008250: 0A9A9B10
	ds_read_b64_tr_b16 a[188:189], v13 offset:5120             // 000000008254: DBC61400 BC00000D
	ds_read_b64_tr_b16 a[190:191], v13 offset:5376             // 00000000825C: DBC61500 BE00000D
	v_mfma_f32_16x16x32_bf16 v[46:49], a[132:135], a[60:63], v[46:49]// 000000008264: D3B5002E 1CBA7984
	buffer_load_dwordx4 v32, s[20:23], 0 offen offset:512 lds  // 00000000826C: E05D1200 80050020
	s_add_i32 m0, m0, 0x3c0                                    // 000000008274: 817CFF7C 000003C0
	v_mfma_f32_16x16x32_bf16 v[46:49], a[136:139], a[64:67], v[46:49]// 00000000827C: D3B5002E 1CBA8188
	v_mul_f32_e32 v78, v16, v78                                // 000000008284: 0A9C9D10
	v_mul_f32_e32 v79, v16, v79                                // 000000008288: 0A9E9F10
	ds_read_b64_tr_b16 a[192:193], v12 offset:6144             // 00000000828C: DBC61800 C000000C
	ds_read_b64_tr_b16 a[194:195], v12 offset:6400             // 000000008294: DBC61900 C200000C
	ds_read_b64_tr_b16 a[196:197], v13 offset:6144             // 00000000829C: DBC61800 C400000D
	ds_read_b64_tr_b16 a[198:199], v13 offset:6400             // 0000000082A4: DBC61900 C600000D
	ds_read_b64_tr_b16 a[200:201], v12 offset:7168             // 0000000082AC: DBC61C00 C800000C
	ds_read_b64_tr_b16 a[202:203], v12 offset:7424             // 0000000082B4: DBC61D00 CA00000C
	ds_read_b64_tr_b16 a[204:205], v13 offset:7168             // 0000000082BC: DBC61C00 CC00000D
	ds_read_b64_tr_b16 a[206:207], v13 offset:7424             // 0000000082C4: DBC61D00 CE00000D
	v_mov_b32_e32 v30, v16                                     // 0000000082CC: 7E3C0310
	v_mov_b32_e32 v31, v16                                     // 0000000082D0: 7E3E0310
	v_pk_mul_f32 v[80:81], v[30:31], v[80:81]                  // 0000000082D4: D3B14050 1802A11E
	v_pk_mul_f32 v[82:83], v[30:31], v[82:83]                  // 0000000082DC: D3B14052 1802A51E
	v_pk_mul_f32 v[84:85], v[30:31], v[84:85]                  // 0000000082E4: D3B14054 1802A91E
	v_pk_mul_f32 v[86:87], v[30:31], v[86:87]                  // 0000000082EC: D3B14056 1802AD1E
	v_pk_mul_f32 v[88:89], v[30:31], v[88:89]                  // 0000000082F4: D3B14058 1802B11E
	v_pk_mul_f32 v[90:91], v[30:31], v[90:91]                  // 0000000082FC: D3B1405A 1802B51E
	v_pk_mul_f32 v[92:93], v[30:31], v[92:93]                  // 000000008304: D3B1405C 1802B91E
	v_pk_mul_f32 v[94:95], v[30:31], v[94:95]                  // 00000000830C: D3B1405E 1802BD1E
	v_pk_mul_f32 v[96:97], v[30:31], v[96:97]                  // 000000008314: D3B14060 1802C11E
	v_pk_mul_f32 v[98:99], v[30:31], v[98:99]                  // 00000000831C: D3B14062 1802C51E
	v_pk_mul_f32 v[100:101], v[30:31], v[100:101]              // 000000008324: D3B14064 1802C91E
	v_pk_mul_f32 v[102:103], v[30:31], v[102:103]              // 00000000832C: D3B14066 1802CD1E
	v_pk_mul_f32 v[104:105], v[30:31], v[104:105]              // 000000008334: D3B14068 1802D11E
	v_pk_mul_f32 v[106:107], v[30:31], v[106:107]              // 00000000833C: D3B1406A 1802D51E
	v_pk_mul_f32 v[108:109], v[30:31], v[108:109]              // 000000008344: D3B1406C 1802D91E
	v_pk_mul_f32 v[110:111], v[30:31], v[110:111]              // 00000000834C: D3B1406E 1802DD1E
	v_pk_mul_f32 v[112:113], v[30:31], v[112:113]              // 000000008354: D3B14070 1802E11E
	v_pk_mul_f32 v[114:115], v[30:31], v[114:115]              // 00000000835C: D3B14072 1802E51E
	v_pk_mul_f32 v[116:117], v[30:31], v[116:117]              // 000000008364: D3B14074 1802E91E
	v_pk_mul_f32 v[118:119], v[30:31], v[118:119]              // 00000000836C: D3B14076 1802ED1E
	v_pk_mul_f32 v[120:121], v[30:31], v[120:121]              // 000000008374: D3B14078 1802F11E
	v_pk_mul_f32 v[122:123], v[30:31], v[122:123]              // 00000000837C: D3B1407A 1802F51E
	v_pk_mul_f32 v[124:125], v[30:31], v[124:125]              // 000000008384: D3B1407C 1802F91E
	v_pk_mul_f32 v[126:127], v[30:31], v[126:127]              // 00000000838C: D3B1407E 1802FD1E
	v_pk_mul_f32 v[128:129], v[30:31], v[128:129]              // 000000008394: D3B14080 1803011E
	v_pk_mul_f32 v[130:131], v[30:31], v[130:131]              // 00000000839C: D3B14082 1803051E
	v_pk_mul_f32 v[132:133], v[30:31], v[132:133]              // 0000000083A4: D3B14084 1803091E
	v_pk_mul_f32 v[134:135], v[30:31], v[134:135]              // 0000000083AC: D3B14086 18030D1E
	v_pk_mul_f32 v[136:137], v[30:31], v[136:137]              // 0000000083B4: D3B14088 1803111E
	v_pk_mul_f32 v[138:139], v[30:31], v[138:139]              // 0000000083BC: D3B1408A 1803151E
	v_pk_mul_f32 v[140:141], v[30:31], v[140:141]              // 0000000083C4: D3B1408C 1803191E
	v_pk_mul_f32 v[142:143], v[30:31], v[142:143]              // 0000000083CC: D3B1408E 18031D1E
	v_pk_mul_f32 v[144:145], v[30:31], v[144:145]              // 0000000083D4: D3B14090 1803211E
	v_pk_mul_f32 v[146:147], v[30:31], v[146:147]              // 0000000083DC: D3B14092 1803251E
	v_pk_mul_f32 v[148:149], v[30:31], v[148:149]              // 0000000083E4: D3B14094 1803291E
	v_pk_mul_f32 v[150:151], v[30:31], v[150:151]              // 0000000083EC: D3B14096 18032D1E
	v_pk_mul_f32 v[152:153], v[30:31], v[152:153]              // 0000000083F4: D3B14098 1803311E
	v_pk_mul_f32 v[154:155], v[30:31], v[154:155]              // 0000000083FC: D3B1409A 1803351E
	v_pk_mul_f32 v[156:157], v[30:31], v[156:157]              // 000000008404: D3B1409C 1803391E
	v_pk_mul_f32 v[158:159], v[30:31], v[158:159]              // 00000000840C: D3B1409E 18033D1E
	v_pk_mul_f32 v[160:161], v[30:31], v[160:161]              // 000000008414: D3B140A0 1803411E
	v_pk_mul_f32 v[162:163], v[30:31], v[162:163]              // 00000000841C: D3B140A2 1803451E
	v_pk_mul_f32 v[164:165], v[30:31], v[164:165]              // 000000008424: D3B140A4 1803491E
	v_pk_mul_f32 v[166:167], v[30:31], v[166:167]              // 00000000842C: D3B140A6 18034D1E
	v_pk_mul_f32 v[168:169], v[30:31], v[168:169]              // 000000008434: D3B140A8 1803511E
	v_pk_mul_f32 v[170:171], v[30:31], v[170:171]              // 00000000843C: D3B140AA 1803551E
	v_pk_mul_f32 v[172:173], v[30:31], v[172:173]              // 000000008444: D3B140AC 1803591E
	v_pk_mul_f32 v[174:175], v[30:31], v[174:175]              // 00000000844C: D3B140AE 18035D1E
	v_pk_mul_f32 v[176:177], v[30:31], v[176:177]              // 000000008454: D3B140B0 1803611E
	v_mfma_f32_16x16x32_bf16 v[46:49], a[140:143], a[68:71], v[46:49]// 00000000845C: D3B5002E 1CBA898C
	s_addk_i32 s70, 0x1                                        // 000000008464: B7460001
	s_cmp_lt_i32 s70, s71                                      // 000000008468: BF044746
	s_cbranch_scc0 label_39A4                                  // 00000000846C: BF84F68D
	s_branch label_39B0                                        // 000000008470: BF82F68F

0000000000008474 <label_5F74>:
	ds_read_b64_tr_b16 a[144:145], v12                         // 000000008474: DBC60000 9000000C
	ds_read_b64_tr_b16 a[146:147], v12 offset:256              // 00000000847C: DBC60100 9200000C
	ds_read_b64_tr_b16 a[148:149], v13                         // 000000008484: DBC60000 9400000D
	ds_read_b64_tr_b16 a[150:151], v13 offset:256              // 00000000848C: DBC60100 9600000D
	ds_read_b64_tr_b16 a[152:153], v12 offset:1024             // 000000008494: DBC60400 9800000C
	ds_read_b64_tr_b16 a[154:155], v12 offset:1280             // 00000000849C: DBC60500 9A00000C
	ds_read_b64_tr_b16 a[156:157], v13 offset:1024             // 0000000084A4: DBC60400 9C00000D
	ds_read_b64_tr_b16 a[158:159], v13 offset:1280             // 0000000084AC: DBC60500 9E00000D
	ds_read_b64_tr_b16 a[160:161], v12 offset:2048             // 0000000084B4: DBC60800 A000000C
	ds_read_b64_tr_b16 a[162:163], v12 offset:2304             // 0000000084BC: DBC60900 A200000C
	ds_read_b64_tr_b16 a[164:165], v13 offset:2048             // 0000000084C4: DBC60800 A400000D
	ds_read_b64_tr_b16 a[166:167], v13 offset:2304             // 0000000084CC: DBC60900 A600000D
	ds_read_b64_tr_b16 a[168:169], v12 offset:3072             // 0000000084D4: DBC60C00 A800000C
	ds_read_b64_tr_b16 a[170:171], v12 offset:3328             // 0000000084DC: DBC60D00 AA00000C
	ds_read_b64_tr_b16 a[172:173], v13 offset:3072             // 0000000084E4: DBC60C00 AC00000D
	ds_read_b64_tr_b16 a[174:175], v13 offset:3328             // 0000000084EC: DBC60D00 AE00000D
	s_waitcnt lgkmcnt(0)                                       // 0000000084F4: BF8CC07F
	v_mfma_f32_16x16x32_bf16 v[50:53], a[144:147], v[34:37], v[50:53]// 0000000084F8: D3B50032 0CCA4590
	ds_read_b64_tr_b16 a[176:177], v12 offset:4096             // 000000008500: DBC61000 B000000C
	ds_read_b64_tr_b16 a[178:179], v12 offset:4352             // 000000008508: DBC61100 B200000C
	ds_read_b64_tr_b16 a[180:181], v13 offset:4096             // 000000008510: DBC61000 B400000D
	ds_read_b64_tr_b16 a[182:183], v13 offset:4352             // 000000008518: DBC61100 B600000D
	v_mfma_f32_16x16x32_bf16 v[54:57], a[148:151], v[34:37], v[54:57]// 000000008520: D3B50036 0CDA4594
	v_mfma_f32_16x16x32_bf16 v[58:61], a[152:155], v[34:37], v[58:61]// 000000008528: D3B5003A 0CEA4598
	ds_read_b64_tr_b16 a[184:185], v12 offset:5120             // 000000008530: DBC61400 B800000C
	ds_read_b64_tr_b16 a[186:187], v12 offset:5376             // 000000008538: DBC61500 BA00000C
	ds_read_b64_tr_b16 a[188:189], v13 offset:5120             // 000000008540: DBC61400 BC00000D
	ds_read_b64_tr_b16 a[190:191], v13 offset:5376             // 000000008548: DBC61500 BE00000D
	v_mfma_f32_16x16x32_bf16 v[62:65], a[156:159], v[34:37], v[62:65]// 000000008550: D3B5003E 0CFA459C
	v_mfma_f32_16x16x32_bf16 v[66:69], a[160:163], v[34:37], v[66:69]// 000000008558: D3B50042 0D0A45A0
	ds_read_b64_tr_b16 a[192:193], v12 offset:6144             // 000000008560: DBC61800 C000000C
	ds_read_b64_tr_b16 a[194:195], v12 offset:6400             // 000000008568: DBC61900 C200000C
	ds_read_b64_tr_b16 a[196:197], v13 offset:6144             // 000000008570: DBC61800 C400000D
	ds_read_b64_tr_b16 a[198:199], v13 offset:6400             // 000000008578: DBC61900 C600000D
	v_mfma_f32_16x16x32_bf16 v[70:73], a[164:167], v[34:37], v[70:73]// 000000008580: D3B50046 0D1A45A4
	v_mfma_f32_16x16x32_bf16 v[74:77], a[168:171], v[34:37], v[74:77]// 000000008588: D3B5004A 0D2A45A8
	ds_read_b64_tr_b16 a[200:201], v12 offset:7168             // 000000008590: DBC61C00 C800000C
	ds_read_b64_tr_b16 a[202:203], v12 offset:7424             // 000000008598: DBC61D00 CA00000C
	ds_read_b64_tr_b16 a[204:205], v13 offset:7168             // 0000000085A0: DBC61C00 CC00000D
	ds_read_b64_tr_b16 a[206:207], v13 offset:7424             // 0000000085A8: DBC61D00 CE00000D
	v_mfma_f32_16x16x32_bf16 v[78:81], a[172:175], v[34:37], v[78:81]// 0000000085B0: D3B5004E 0D3A45AC
	v_mfma_f32_16x16x32_bf16 v[82:85], a[176:179], v[34:37], v[82:85]// 0000000085B8: D3B50052 0D4A45B0
	ds_read_b64_tr_b16 a[144:145], v12 offset:8192             // 0000000085C0: DBC62000 9000000C
	ds_read_b64_tr_b16 a[146:147], v12 offset:8448             // 0000000085C8: DBC62100 9200000C
	ds_read_b64_tr_b16 a[148:149], v13 offset:8192             // 0000000085D0: DBC62000 9400000D
	ds_read_b64_tr_b16 a[150:151], v13 offset:8448             // 0000000085D8: DBC62100 9600000D
	v_mfma_f32_16x16x32_bf16 v[86:89], a[180:183], v[34:37], v[86:89]// 0000000085E0: D3B50056 0D5A45B4
	v_mfma_f32_16x16x32_bf16 v[90:93], a[184:187], v[34:37], v[90:93]// 0000000085E8: D3B5005A 0D6A45B8
	ds_read_b64_tr_b16 a[152:153], v12 offset:9216             // 0000000085F0: DBC62400 9800000C
	ds_read_b64_tr_b16 a[154:155], v12 offset:9472             // 0000000085F8: DBC62500 9A00000C
	ds_read_b64_tr_b16 a[156:157], v13 offset:9216             // 000000008600: DBC62400 9C00000D
	ds_read_b64_tr_b16 a[158:159], v13 offset:9472             // 000000008608: DBC62500 9E00000D
	v_mfma_f32_16x16x32_bf16 v[94:97], a[188:191], v[34:37], v[94:97]// 000000008610: D3B5005E 0D7A45BC
	v_mfma_f32_16x16x32_bf16 v[98:101], a[192:195], v[34:37], v[98:101]// 000000008618: D3B50062 0D8A45C0
	ds_read_b64_tr_b16 a[160:161], v12 offset:10240            // 000000008620: DBC62800 A000000C
	ds_read_b64_tr_b16 a[162:163], v12 offset:10496            // 000000008628: DBC62900 A200000C
	ds_read_b64_tr_b16 a[164:165], v13 offset:10240            // 000000008630: DBC62800 A400000D
	ds_read_b64_tr_b16 a[166:167], v13 offset:10496            // 000000008638: DBC62900 A600000D
	v_mfma_f32_16x16x32_bf16 v[102:105], a[196:199], v[34:37], v[102:105]// 000000008640: D3B50066 0D9A45C4
	v_mfma_f32_16x16x32_bf16 v[106:109], a[200:203], v[34:37], v[106:109]// 000000008648: D3B5006A 0DAA45C8
	ds_read_b64_tr_b16 a[168:169], v12 offset:11264            // 000000008650: DBC62C00 A800000C
	ds_read_b64_tr_b16 a[170:171], v12 offset:11520            // 000000008658: DBC62D00 AA00000C
	ds_read_b64_tr_b16 a[172:173], v13 offset:11264            // 000000008660: DBC62C00 AC00000D
	ds_read_b64_tr_b16 a[174:175], v13 offset:11520            // 000000008668: DBC62D00 AE00000D
	v_mfma_f32_16x16x32_bf16 v[110:113], a[204:207], v[34:37], v[110:113]// 000000008670: D3B5006E 0DBA45CC
	v_mfma_f32_16x16x32_bf16 v[114:117], a[144:147], v[34:37], v[114:117]// 000000008678: D3B50072 0DCA4590
	ds_read_b64_tr_b16 a[176:177], v12 offset:12288            // 000000008680: DBC63000 B000000C
	ds_read_b64_tr_b16 a[178:179], v12 offset:12544            // 000000008688: DBC63100 B200000C
	ds_read_b64_tr_b16 a[180:181], v13 offset:12288            // 000000008690: DBC63000 B400000D
	ds_read_b64_tr_b16 a[182:183], v13 offset:12544            // 000000008698: DBC63100 B600000D
	v_mfma_f32_16x16x32_bf16 v[118:121], a[148:151], v[34:37], v[118:121]// 0000000086A0: D3B50076 0DDA4594
	ds_read_b64_tr_b16 a[184:185], v12 offset:13312            // 0000000086A8: DBC63400 B800000C
	ds_read_b64_tr_b16 a[186:187], v12 offset:13568            // 0000000086B0: DBC63500 BA00000C
	ds_read_b64_tr_b16 a[188:189], v13 offset:13312            // 0000000086B8: DBC63400 BC00000D
	ds_read_b64_tr_b16 a[190:191], v13 offset:13568            // 0000000086C0: DBC63500 BE00000D
	v_mfma_f32_16x16x32_bf16 v[122:125], a[152:155], v[34:37], v[122:125]// 0000000086C8: D3B5007A 0DEA4598
	ds_read_b64_tr_b16 a[192:193], v12 offset:14336            // 0000000086D0: DBC63800 C000000C
	ds_read_b64_tr_b16 a[194:195], v12 offset:14592            // 0000000086D8: DBC63900 C200000C
	ds_read_b64_tr_b16 a[196:197], v13 offset:14336            // 0000000086E0: DBC63800 C400000D
	ds_read_b64_tr_b16 a[198:199], v13 offset:14592            // 0000000086E8: DBC63900 C600000D
	v_mfma_f32_16x16x32_bf16 v[126:129], a[156:159], v[34:37], v[126:129]// 0000000086F0: D3B5007E 0DFA459C
	ds_read_b64_tr_b16 a[200:201], v12 offset:15360            // 0000000086F8: DBC63C00 C800000C
	ds_read_b64_tr_b16 a[202:203], v12 offset:15616            // 000000008700: DBC63D00 CA00000C
	ds_read_b64_tr_b16 a[204:205], v13 offset:15360            // 000000008708: DBC63C00 CC00000D
	ds_read_b64_tr_b16 a[206:207], v13 offset:15616            // 000000008710: DBC63D00 CE00000D
	v_mfma_f32_16x16x32_bf16 v[130:133], a[160:163], v[34:37], v[130:133]// 000000008718: D3B50082 0E0A45A0
	v_mfma_f32_16x16x32_bf16 v[134:137], a[164:167], v[34:37], v[134:137]// 000000008720: D3B50086 0E1A45A4
	v_mfma_f32_16x16x32_bf16 v[138:141], a[168:171], v[34:37], v[138:141]// 000000008728: D3B5008A 0E2A45A8
	v_mfma_f32_16x16x32_bf16 v[142:145], a[172:175], v[34:37], v[142:145]// 000000008730: D3B5008E 0E3A45AC
	v_mfma_f32_16x16x32_bf16 v[146:149], a[176:179], v[34:37], v[146:149]// 000000008738: D3B50092 0E4A45B0
	v_mfma_f32_16x16x32_bf16 v[150:153], a[180:183], v[34:37], v[150:153]// 000000008740: D3B50096 0E5A45B4
	v_mfma_f32_16x16x32_bf16 v[154:157], a[184:187], v[34:37], v[154:157]// 000000008748: D3B5009A 0E6A45B8
	v_mfma_f32_16x16x32_bf16 v[158:161], a[188:191], v[34:37], v[158:161]// 000000008750: D3B5009E 0E7A45BC
	v_mfma_f32_16x16x32_bf16 v[162:165], a[192:195], v[34:37], v[162:165]// 000000008758: D3B500A2 0E8A45C0
	v_mfma_f32_16x16x32_bf16 v[166:169], a[196:199], v[34:37], v[166:169]// 000000008760: D3B500A6 0E9A45C4
	v_mfma_f32_16x16x32_bf16 v[170:173], a[200:203], v[34:37], v[170:173]// 000000008768: D3B500AA 0EAA45C8
	v_mfma_f32_16x16x32_bf16 v[174:177], a[204:207], v[34:37], v[174:177]// 000000008770: D3B500AE 0EBA45CC
	s_branch label_86A0                                        // 000000008778: BF820909

000000000000877c <label_627C>:
	s_and_b32 s56, 3, s71                                      // 00000000877C: 86384783
	s_cmp_eq_i32 s56, 0                                        // 000000008780: BF008038
	s_cbranch_scc1 label_74A0                                  // 000000008784: BF850486
	s_cmp_eq_i32 s56, 1                                        // 000000008788: BF008138
	s_cbranch_scc1 label_7DA0                                  // 00000000878C: BF8506C4
	s_cmp_eq_i32 s56, 3                                        // 000000008790: BF008338
	s_cbranch_scc1 label_6BA0                                  // 000000008794: BF850242
	s_cmp_eq_i32 s56, 2                                        // 000000008798: BF008238
	s_cbranch_scc1 label_62A0                                  // 00000000879C: BF850000

00000000000087a0 <label_62A0>:
	s_nop 2                                                    // 0000000087A0: BF800002
	v_mov_b32_e32 v29, v42                                     // 0000000087A4: 7E3A032A
	v_max3_f32 v29, v42, v43, v29                              // 0000000087A8: D1D3001D 0476572A
	v_max3_f32 v29, v44, v45, v29                              // 0000000087B0: D1D3001D 04765B2C
	v_max3_f32 v29, v46, v47, v29                              // 0000000087B8: D1D3001D 04765F2E
	v_max3_f32 v29, v48, v49, v29                              // 0000000087C0: D1D3001D 04766330
	v_mov_b32_e32 v28, v29                                     // 0000000087C8: 7E38031D
	v_mov_b32_e32 v29, v29                                     // 0000000087CC: 7E3A031D
	s_nop 1                                                    // 0000000087D0: BF800001
	v_permlane16_swap_b32_e32 v28, v29                         // 0000000087D4: 7E38B31D
	v_mov_b32_e32 v31, v28                                     // 0000000087D8: 7E3E031C
	v_mov_b32_e32 v30, v29                                     // 0000000087DC: 7E3C031D
	s_nop 1                                                    // 0000000087E0: BF800001
	v_permlane32_swap_b32_e32 v28, v29                         // 0000000087E4: 7E38B51D
	v_permlane32_swap_b32_e32 v30, v31                         // 0000000087E8: 7E3CB51F
	v_max3_f32 v29, v28, v29, v29                              // 0000000087EC: D1D3001D 04763B1C
	v_max3_f32 v29, v30, v31, v29                              // 0000000087F4: D1D3001D 04763F1E
	v_mov_b32_e32 v28, 0xff800000                              // 0000000087FC: 7E3802FF FF800000
	v_cmp_eq_u32_e64 s[36:37], v28, v2                         // 000000008804: D0CA0024 0002051C
	v_max_f32_e32 v29, v29, v2                                 // 00000000880C: 163A051D
	v_sub_f32_e32 v16, v2, v29                                 // 000000008810: 04203B02
	v_cndmask_b32_e64 v16, v16, 0, s[36:37]                    // 000000008814: D1000010 00910110
	v_mov_b32_e32 v2, v29                                      // 00000000881C: 7E04031D
	v_mul_f32_e32 v29, s5, v29                                 // 000000008820: 0A3A3A05
	v_mul_f32_e32 v16, s5, v16                                 // 000000008824: 0A202005
	v_exp_f32_e32 v16, v16                                     // 000000008828: 7E204110
	v_fma_f32 v42, v42, s5, -v29                               // 00000000882C: D1CB002A 84740B2A
	v_fma_f32 v43, v43, s5, -v29                               // 000000008834: D1CB002B 84740B2B
	v_fma_f32 v44, v44, s5, -v29                               // 00000000883C: D1CB002C 84740B2C
	v_fma_f32 v45, v45, s5, -v29                               // 000000008844: D1CB002D 84740B2D
	v_fma_f32 v46, v46, s5, -v29                               // 00000000884C: D1CB002E 84740B2E
	v_fma_f32 v47, v47, s5, -v29                               // 000000008854: D1CB002F 84740B2F
	v_fma_f32 v48, v48, s5, -v29                               // 00000000885C: D1CB0030 84740B30
	v_fma_f32 v49, v49, s5, -v29                               // 000000008864: D1CB0031 84740B31
	v_exp_f32_e32 v42, v42                                     // 00000000886C: 7E54412A
	v_exp_f32_e32 v43, v43                                     // 000000008870: 7E56412B
	v_exp_f32_e32 v44, v44                                     // 000000008874: 7E58412C
	v_exp_f32_e32 v45, v45                                     // 000000008878: 7E5A412D
	v_exp_f32_e32 v46, v46                                     // 00000000887C: 7E5C412E
	v_exp_f32_e32 v47, v47                                     // 000000008880: 7E5E412F
	v_exp_f32_e32 v48, v48                                     // 000000008884: 7E604130
	v_exp_f32_e32 v49, v49                                     // 000000008888: 7E624131
	v_mul_f32_e32 v4, v16, v4                                  // 00000000888C: 0A080910
	v_mov_b32_e32 v28, v42                                     // 000000008890: 7E38032A
	v_add_f32_e32 v28, v43, v28                                // 000000008894: 0238392B
	v_add_f32_e32 v28, v44, v28                                // 000000008898: 0238392C
	v_add_f32_e32 v28, v45, v28                                // 00000000889C: 0238392D
	v_add_f32_e32 v28, v46, v28                                // 0000000088A0: 0238392E
	v_add_f32_e32 v28, v47, v28                                // 0000000088A4: 0238392F
	v_add_f32_e32 v28, v48, v28                                // 0000000088A8: 02383930
	v_add_f32_e32 v28, v49, v28                                // 0000000088AC: 02383931
	v_add_f32_e32 v4, v28, v4                                  // 0000000088B0: 0208091C
	v_cvt_pk_bf16_f32 v42, v42, v43                            // 0000000088B4: D268002A 0002572A
	v_cvt_pk_bf16_f32 v43, v44, v45                            // 0000000088BC: D268002B 00025B2C
	v_cvt_pk_bf16_f32 v44, v46, v47                            // 0000000088C4: D268002C 00025F2E
	v_cvt_pk_bf16_f32 v45, v48, v49                            // 0000000088CC: D268002D 00026330
	s_nop 0                                                    // 0000000088D4: BF800000
	v_permlane32_swap_b32_e32 v42, v44                         // 0000000088D8: 7E54B52C
	v_permlane32_swap_b32_e32 v43, v45                         // 0000000088DC: 7E56B52D
	s_nop 0                                                    // 0000000088E0: BF800000
	v_permlane16_swap_b32_e32 v42, v44                         // 0000000088E4: 7E54B32C
	v_permlane16_swap_b32_e32 v43, v45                         // 0000000088E8: 7E56B32D
	s_waitcnt lgkmcnt(4)                                       // 0000000088EC: BF8CC47F
	v_mfma_f32_16x16x32_bf16 v[50:53], a[144:147], v[34:37], v[50:53]// 0000000088F0: D3B50032 0CCA4590
	v_mfma_f32_16x16x32_bf16 v[54:57], a[148:151], v[34:37], v[54:57]// 0000000088F8: D3B50036 0CDA4594
	v_mfma_f32_16x16x32_bf16 v[58:61], a[152:155], v[34:37], v[58:61]// 000000008900: D3B5003A 0CEA4598
	v_mfma_f32_16x16x32_bf16 v[62:65], a[156:159], v[34:37], v[62:65]// 000000008908: D3B5003E 0CFA459C
	v_mfma_f32_16x16x32_bf16 v[66:69], a[160:163], v[34:37], v[66:69]// 000000008910: D3B50042 0D0A45A0
	v_mfma_f32_16x16x32_bf16 v[70:73], a[164:167], v[34:37], v[70:73]// 000000008918: D3B50046 0D1A45A4
	v_mfma_f32_16x16x32_bf16 v[74:77], a[168:171], v[34:37], v[74:77]// 000000008920: D3B5004A 0D2A45A8
	v_mfma_f32_16x16x32_bf16 v[78:81], a[172:175], v[34:37], v[78:81]// 000000008928: D3B5004E 0D3A45AC
	v_mfma_f32_16x16x32_bf16 v[82:85], a[176:179], v[34:37], v[82:85]// 000000008930: D3B50052 0D4A45B0
	v_mfma_f32_16x16x32_bf16 v[86:89], a[180:183], v[34:37], v[86:89]// 000000008938: D3B50056 0D5A45B4
	v_mfma_f32_16x16x32_bf16 v[90:93], a[184:187], v[34:37], v[90:93]// 000000008940: D3B5005A 0D6A45B8
	v_mfma_f32_16x16x32_bf16 v[94:97], a[188:191], v[34:37], v[94:97]// 000000008948: D3B5005E 0D7A45BC
	v_mfma_f32_16x16x32_bf16 v[98:101], a[192:195], v[34:37], v[98:101]// 000000008950: D3B50062 0D8A45C0
	v_mfma_f32_16x16x32_bf16 v[102:105], a[196:199], v[34:37], v[102:105]// 000000008958: D3B50066 0D9A45C4
	v_mfma_f32_16x16x32_bf16 v[106:109], a[200:203], v[34:37], v[106:109]// 000000008960: D3B5006A 0DAA45C8
	v_mfma_f32_16x16x32_bf16 v[110:113], a[204:207], v[34:37], v[110:113]// 000000008968: D3B5006E 0DBA45CC
	ds_read_b64_tr_b16 a[144:145], v12 offset:8192             // 000000008970: DBC62000 9000000C
	ds_read_b64_tr_b16 a[146:147], v12 offset:8448             // 000000008978: DBC62100 9200000C
	ds_read_b64_tr_b16 a[148:149], v13 offset:8192             // 000000008980: DBC62000 9400000D
	ds_read_b64_tr_b16 a[150:151], v13 offset:8448             // 000000008988: DBC62100 9600000D
	ds_read_b64_tr_b16 a[152:153], v12 offset:9216             // 000000008990: DBC62400 9800000C
	ds_read_b64_tr_b16 a[154:155], v12 offset:9472             // 000000008998: DBC62500 9A00000C
	ds_read_b64_tr_b16 a[156:157], v13 offset:9216             // 0000000089A0: DBC62400 9C00000D
	ds_read_b64_tr_b16 a[158:159], v13 offset:9472             // 0000000089A8: DBC62500 9E00000D
	ds_read_b64_tr_b16 a[160:161], v12 offset:10240            // 0000000089B0: DBC62800 A000000C
	ds_read_b64_tr_b16 a[162:163], v12 offset:10496            // 0000000089B8: DBC62900 A200000C
	ds_read_b64_tr_b16 a[164:165], v13 offset:10240            // 0000000089C0: DBC62800 A400000D
	ds_read_b64_tr_b16 a[166:167], v13 offset:10496            // 0000000089C8: DBC62900 A600000D
	ds_read_b64_tr_b16 a[168:169], v12 offset:11264            // 0000000089D0: DBC62C00 A800000C
	ds_read_b64_tr_b16 a[170:171], v12 offset:11520            // 0000000089D8: DBC62D00 AA00000C
	ds_read_b64_tr_b16 a[172:173], v13 offset:11264            // 0000000089E0: DBC62C00 AC00000D
	ds_read_b64_tr_b16 a[174:175], v13 offset:11520            // 0000000089E8: DBC62D00 AE00000D
	ds_read_b64_tr_b16 a[176:177], v12 offset:12288            // 0000000089F0: DBC63000 B000000C
	ds_read_b64_tr_b16 a[178:179], v12 offset:12544            // 0000000089F8: DBC63100 B200000C
	ds_read_b64_tr_b16 a[180:181], v13 offset:12288            // 000000008A00: DBC63000 B400000D
	ds_read_b64_tr_b16 a[182:183], v13 offset:12544            // 000000008A08: DBC63100 B600000D
	ds_read_b64_tr_b16 a[184:185], v12 offset:13312            // 000000008A10: DBC63400 B800000C
	ds_read_b64_tr_b16 a[186:187], v12 offset:13568            // 000000008A18: DBC63500 BA00000C
	ds_read_b64_tr_b16 a[188:189], v13 offset:13312            // 000000008A20: DBC63400 BC00000D
	ds_read_b64_tr_b16 a[190:191], v13 offset:13568            // 000000008A28: DBC63500 BE00000D
	ds_read_b64_tr_b16 a[192:193], v12 offset:14336            // 000000008A30: DBC63800 C000000C
	ds_read_b64_tr_b16 a[194:195], v12 offset:14592            // 000000008A38: DBC63900 C200000C
	ds_read_b64_tr_b16 a[196:197], v13 offset:14336            // 000000008A40: DBC63800 C400000D
	ds_read_b64_tr_b16 a[198:199], v13 offset:14592            // 000000008A48: DBC63900 C600000D
	ds_read_b64_tr_b16 a[200:201], v12 offset:15360            // 000000008A50: DBC63C00 C800000C
	ds_read_b64_tr_b16 a[202:203], v12 offset:15616            // 000000008A58: DBC63D00 CA00000C
	ds_read_b64_tr_b16 a[204:205], v13 offset:15360            // 000000008A60: DBC63C00 CC00000D
	ds_read_b64_tr_b16 a[206:207], v13 offset:15616            // 000000008A68: DBC63D00 CE00000D
	s_waitcnt lgkmcnt(0)                                       // 000000008A70: BF8CC07F
	v_mfma_f32_16x16x32_bf16 v[114:117], a[144:147], v[34:37], v[114:117]// 000000008A74: D3B50072 0DCA4590
	v_mfma_f32_16x16x32_bf16 v[118:121], a[148:151], v[34:37], v[118:121]// 000000008A7C: D3B50076 0DDA4594
	v_mfma_f32_16x16x32_bf16 v[122:125], a[152:155], v[34:37], v[122:125]// 000000008A84: D3B5007A 0DEA4598
	v_mfma_f32_16x16x32_bf16 v[126:129], a[156:159], v[34:37], v[126:129]// 000000008A8C: D3B5007E 0DFA459C
	v_mfma_f32_16x16x32_bf16 v[130:133], a[160:163], v[34:37], v[130:133]// 000000008A94: D3B50082 0E0A45A0
	v_mfma_f32_16x16x32_bf16 v[134:137], a[164:167], v[34:37], v[134:137]// 000000008A9C: D3B50086 0E1A45A4
	v_mfma_f32_16x16x32_bf16 v[138:141], a[168:171], v[34:37], v[138:141]// 000000008AA4: D3B5008A 0E2A45A8
	v_mfma_f32_16x16x32_bf16 v[142:145], a[172:175], v[34:37], v[142:145]// 000000008AAC: D3B5008E 0E3A45AC
	v_mfma_f32_16x16x32_bf16 v[146:149], a[176:179], v[34:37], v[146:149]// 000000008AB4: D3B50092 0E4A45B0
	v_mfma_f32_16x16x32_bf16 v[150:153], a[180:183], v[34:37], v[150:153]// 000000008ABC: D3B50096 0E5A45B4
	v_mfma_f32_16x16x32_bf16 v[154:157], a[184:187], v[34:37], v[154:157]// 000000008AC4: D3B5009A 0E6A45B8
	v_mfma_f32_16x16x32_bf16 v[158:161], a[188:191], v[34:37], v[158:161]// 000000008ACC: D3B5009E 0E7A45BC
	v_mfma_f32_16x16x32_bf16 v[162:165], a[192:195], v[34:37], v[162:165]// 000000008AD4: D3B500A2 0E8A45C0
	v_mfma_f32_16x16x32_bf16 v[166:169], a[196:199], v[34:37], v[166:169]// 000000008ADC: D3B500A6 0E9A45C4
	v_mfma_f32_16x16x32_bf16 v[170:173], a[200:203], v[34:37], v[170:173]// 000000008AE4: D3B500AA 0EAA45C8
	v_mfma_f32_16x16x32_bf16 v[174:177], a[204:207], v[34:37], v[174:177]// 000000008AEC: D3B500AE 0EBA45CC
	ds_read_b64_tr_b16 a[144:145], v14                         // 000000008AF4: DBC60000 9000000E
	ds_read_b64_tr_b16 a[146:147], v14 offset:256              // 000000008AFC: DBC60100 9200000E
	ds_read_b64_tr_b16 a[148:149], v15                         // 000000008B04: DBC60000 9400000F
	ds_read_b64_tr_b16 a[150:151], v15 offset:256              // 000000008B0C: DBC60100 9600000F
	ds_read_b64_tr_b16 a[152:153], v14 offset:1024             // 000000008B14: DBC60400 9800000E
	ds_read_b64_tr_b16 a[154:155], v14 offset:1280             // 000000008B1C: DBC60500 9A00000E
	ds_read_b64_tr_b16 a[156:157], v15 offset:1024             // 000000008B24: DBC60400 9C00000F
	ds_read_b64_tr_b16 a[158:159], v15 offset:1280             // 000000008B2C: DBC60500 9E00000F
	ds_read_b64_tr_b16 a[160:161], v14 offset:2048             // 000000008B34: DBC60800 A000000E
	ds_read_b64_tr_b16 a[162:163], v14 offset:2304             // 000000008B3C: DBC60900 A200000E
	ds_read_b64_tr_b16 a[164:165], v15 offset:2048             // 000000008B44: DBC60800 A400000F
	ds_read_b64_tr_b16 a[166:167], v15 offset:2304             // 000000008B4C: DBC60900 A600000F
	ds_read_b64_tr_b16 a[168:169], v14 offset:3072             // 000000008B54: DBC60C00 A800000E
	ds_read_b64_tr_b16 a[170:171], v14 offset:3328             // 000000008B5C: DBC60D00 AA00000E
	ds_read_b64_tr_b16 a[172:173], v15 offset:3072             // 000000008B64: DBC60C00 AC00000F
	ds_read_b64_tr_b16 a[174:175], v15 offset:3328             // 000000008B6C: DBC60D00 AE00000F
	ds_read_b64_tr_b16 a[176:177], v14 offset:4096             // 000000008B74: DBC61000 B000000E
	ds_read_b64_tr_b16 a[178:179], v14 offset:4352             // 000000008B7C: DBC61100 B200000E
	ds_read_b64_tr_b16 a[180:181], v15 offset:4096             // 000000008B84: DBC61000 B400000F
	ds_read_b64_tr_b16 a[182:183], v15 offset:4352             // 000000008B8C: DBC61100 B600000F
	ds_read_b64_tr_b16 a[184:185], v14 offset:5120             // 000000008B94: DBC61400 B800000E
	ds_read_b64_tr_b16 a[186:187], v14 offset:5376             // 000000008B9C: DBC61500 BA00000E
	ds_read_b64_tr_b16 a[188:189], v15 offset:5120             // 000000008BA4: DBC61400 BC00000F
	ds_read_b64_tr_b16 a[190:191], v15 offset:5376             // 000000008BAC: DBC61500 BE00000F
	ds_read_b64_tr_b16 a[192:193], v14 offset:6144             // 000000008BB4: DBC61800 C000000E
	ds_read_b64_tr_b16 a[194:195], v14 offset:6400             // 000000008BBC: DBC61900 C200000E
	ds_read_b64_tr_b16 a[196:197], v15 offset:6144             // 000000008BC4: DBC61800 C400000F
	ds_read_b64_tr_b16 a[198:199], v15 offset:6400             // 000000008BCC: DBC61900 C600000F
	ds_read_b64_tr_b16 a[200:201], v14 offset:7168             // 000000008BD4: DBC61C00 C800000E
	ds_read_b64_tr_b16 a[202:203], v14 offset:7424             // 000000008BDC: DBC61D00 CA00000E
	ds_read_b64_tr_b16 a[204:205], v15 offset:7168             // 000000008BE4: DBC61C00 CC00000F
	ds_read_b64_tr_b16 a[206:207], v15 offset:7424             // 000000008BEC: DBC61D00 CE00000F
	v_mov_b32_e32 v30, v16                                     // 000000008BF4: 7E3C0310
	v_mov_b32_e32 v31, v16                                     // 000000008BF8: 7E3E0310
	v_pk_mul_f32 v[50:51], v[30:31], v[50:51]                  // 000000008BFC: D3B14032 1802651E
	v_pk_mul_f32 v[52:53], v[30:31], v[52:53]                  // 000000008C04: D3B14034 1802691E
	v_pk_mul_f32 v[54:55], v[30:31], v[54:55]                  // 000000008C0C: D3B14036 18026D1E
	v_pk_mul_f32 v[56:57], v[30:31], v[56:57]                  // 000000008C14: D3B14038 1802711E
	v_pk_mul_f32 v[58:59], v[30:31], v[58:59]                  // 000000008C1C: D3B1403A 1802751E
	v_pk_mul_f32 v[60:61], v[30:31], v[60:61]                  // 000000008C24: D3B1403C 1802791E
	v_pk_mul_f32 v[62:63], v[30:31], v[62:63]                  // 000000008C2C: D3B1403E 18027D1E
	v_pk_mul_f32 v[64:65], v[30:31], v[64:65]                  // 000000008C34: D3B14040 1802811E
	v_pk_mul_f32 v[66:67], v[30:31], v[66:67]                  // 000000008C3C: D3B14042 1802851E
	v_pk_mul_f32 v[68:69], v[30:31], v[68:69]                  // 000000008C44: D3B14044 1802891E
	v_pk_mul_f32 v[70:71], v[30:31], v[70:71]                  // 000000008C4C: D3B14046 18028D1E
	v_pk_mul_f32 v[72:73], v[30:31], v[72:73]                  // 000000008C54: D3B14048 1802911E
	v_pk_mul_f32 v[74:75], v[30:31], v[74:75]                  // 000000008C5C: D3B1404A 1802951E
	v_pk_mul_f32 v[76:77], v[30:31], v[76:77]                  // 000000008C64: D3B1404C 1802991E
	v_pk_mul_f32 v[78:79], v[30:31], v[78:79]                  // 000000008C6C: D3B1404E 18029D1E
	v_pk_mul_f32 v[80:81], v[30:31], v[80:81]                  // 000000008C74: D3B14050 1802A11E
	v_pk_mul_f32 v[82:83], v[30:31], v[82:83]                  // 000000008C7C: D3B14052 1802A51E
	v_pk_mul_f32 v[84:85], v[30:31], v[84:85]                  // 000000008C84: D3B14054 1802A91E
	v_pk_mul_f32 v[86:87], v[30:31], v[86:87]                  // 000000008C8C: D3B14056 1802AD1E
	v_pk_mul_f32 v[88:89], v[30:31], v[88:89]                  // 000000008C94: D3B14058 1802B11E
	v_pk_mul_f32 v[90:91], v[30:31], v[90:91]                  // 000000008C9C: D3B1405A 1802B51E
	v_pk_mul_f32 v[92:93], v[30:31], v[92:93]                  // 000000008CA4: D3B1405C 1802B91E
	v_pk_mul_f32 v[94:95], v[30:31], v[94:95]                  // 000000008CAC: D3B1405E 1802BD1E
	v_pk_mul_f32 v[96:97], v[30:31], v[96:97]                  // 000000008CB4: D3B14060 1802C11E
	v_pk_mul_f32 v[98:99], v[30:31], v[98:99]                  // 000000008CBC: D3B14062 1802C51E
	v_pk_mul_f32 v[100:101], v[30:31], v[100:101]              // 000000008CC4: D3B14064 1802C91E
	v_pk_mul_f32 v[102:103], v[30:31], v[102:103]              // 000000008CCC: D3B14066 1802CD1E
	v_pk_mul_f32 v[104:105], v[30:31], v[104:105]              // 000000008CD4: D3B14068 1802D11E
	v_pk_mul_f32 v[106:107], v[30:31], v[106:107]              // 000000008CDC: D3B1406A 1802D51E
	v_pk_mul_f32 v[108:109], v[30:31], v[108:109]              // 000000008CE4: D3B1406C 1802D91E
	v_pk_mul_f32 v[110:111], v[30:31], v[110:111]              // 000000008CEC: D3B1406E 1802DD1E
	v_pk_mul_f32 v[112:113], v[30:31], v[112:113]              // 000000008CF4: D3B14070 1802E11E
	v_pk_mul_f32 v[114:115], v[30:31], v[114:115]              // 000000008CFC: D3B14072 1802E51E
	v_pk_mul_f32 v[116:117], v[30:31], v[116:117]              // 000000008D04: D3B14074 1802E91E
	v_pk_mul_f32 v[118:119], v[30:31], v[118:119]              // 000000008D0C: D3B14076 1802ED1E
	v_pk_mul_f32 v[120:121], v[30:31], v[120:121]              // 000000008D14: D3B14078 1802F11E
	v_pk_mul_f32 v[122:123], v[30:31], v[122:123]              // 000000008D1C: D3B1407A 1802F51E
	v_pk_mul_f32 v[124:125], v[30:31], v[124:125]              // 000000008D24: D3B1407C 1802F91E
	v_pk_mul_f32 v[126:127], v[30:31], v[126:127]              // 000000008D2C: D3B1407E 1802FD1E
	v_pk_mul_f32 v[128:129], v[30:31], v[128:129]              // 000000008D34: D3B14080 1803011E
	v_pk_mul_f32 v[130:131], v[30:31], v[130:131]              // 000000008D3C: D3B14082 1803051E
	v_pk_mul_f32 v[132:133], v[30:31], v[132:133]              // 000000008D44: D3B14084 1803091E
	v_pk_mul_f32 v[134:135], v[30:31], v[134:135]              // 000000008D4C: D3B14086 18030D1E
	v_pk_mul_f32 v[136:137], v[30:31], v[136:137]              // 000000008D54: D3B14088 1803111E
	v_pk_mul_f32 v[138:139], v[30:31], v[138:139]              // 000000008D5C: D3B1408A 1803151E
	v_pk_mul_f32 v[140:141], v[30:31], v[140:141]              // 000000008D64: D3B1408C 1803191E
	v_pk_mul_f32 v[142:143], v[30:31], v[142:143]              // 000000008D6C: D3B1408E 18031D1E
	v_pk_mul_f32 v[144:145], v[30:31], v[144:145]              // 000000008D74: D3B14090 1803211E
	v_pk_mul_f32 v[146:147], v[30:31], v[146:147]              // 000000008D7C: D3B14092 1803251E
	v_pk_mul_f32 v[148:149], v[30:31], v[148:149]              // 000000008D84: D3B14094 1803291E
	v_pk_mul_f32 v[150:151], v[30:31], v[150:151]              // 000000008D8C: D3B14096 18032D1E
	v_pk_mul_f32 v[152:153], v[30:31], v[152:153]              // 000000008D94: D3B14098 1803311E
	v_pk_mul_f32 v[154:155], v[30:31], v[154:155]              // 000000008D9C: D3B1409A 1803351E
	v_pk_mul_f32 v[156:157], v[30:31], v[156:157]              // 000000008DA4: D3B1409C 1803391E
	v_pk_mul_f32 v[158:159], v[30:31], v[158:159]              // 000000008DAC: D3B1409E 18033D1E
	v_pk_mul_f32 v[160:161], v[30:31], v[160:161]              // 000000008DB4: D3B140A0 1803411E
	v_pk_mul_f32 v[162:163], v[30:31], v[162:163]              // 000000008DBC: D3B140A2 1803451E
	v_pk_mul_f32 v[164:165], v[30:31], v[164:165]              // 000000008DC4: D3B140A4 1803491E
	v_pk_mul_f32 v[166:167], v[30:31], v[166:167]              // 000000008DCC: D3B140A6 18034D1E
	v_pk_mul_f32 v[168:169], v[30:31], v[168:169]              // 000000008DD4: D3B140A8 1803511E
	v_pk_mul_f32 v[170:171], v[30:31], v[170:171]              // 000000008DDC: D3B140AA 1803551E
	v_pk_mul_f32 v[172:173], v[30:31], v[172:173]              // 000000008DE4: D3B140AC 1803591E
	v_pk_mul_f32 v[174:175], v[30:31], v[174:175]              // 000000008DEC: D3B140AE 18035D1E
	v_pk_mul_f32 v[176:177], v[30:31], v[176:177]              // 000000008DF4: D3B140B0 1803611E
	s_waitcnt lgkmcnt(4)                                       // 000000008DFC: BF8CC47F
	v_mfma_f32_16x16x32_bf16 v[50:53], a[144:147], v[42:45], v[50:53]// 000000008E00: D3B50032 0CCA5590
	v_mfma_f32_16x16x32_bf16 v[54:57], a[148:151], v[42:45], v[54:57]// 000000008E08: D3B50036 0CDA5594
	v_mfma_f32_16x16x32_bf16 v[58:61], a[152:155], v[42:45], v[58:61]// 000000008E10: D3B5003A 0CEA5598
	v_mfma_f32_16x16x32_bf16 v[62:65], a[156:159], v[42:45], v[62:65]// 000000008E18: D3B5003E 0CFA559C
	v_mfma_f32_16x16x32_bf16 v[66:69], a[160:163], v[42:45], v[66:69]// 000000008E20: D3B50042 0D0A55A0
	v_mfma_f32_16x16x32_bf16 v[70:73], a[164:167], v[42:45], v[70:73]// 000000008E28: D3B50046 0D1A55A4
	v_mfma_f32_16x16x32_bf16 v[74:77], a[168:171], v[42:45], v[74:77]// 000000008E30: D3B5004A 0D2A55A8
	v_mfma_f32_16x16x32_bf16 v[78:81], a[172:175], v[42:45], v[78:81]// 000000008E38: D3B5004E 0D3A55AC
	v_mfma_f32_16x16x32_bf16 v[82:85], a[176:179], v[42:45], v[82:85]// 000000008E40: D3B50052 0D4A55B0
	v_mfma_f32_16x16x32_bf16 v[86:89], a[180:183], v[42:45], v[86:89]// 000000008E48: D3B50056 0D5A55B4
	v_mfma_f32_16x16x32_bf16 v[90:93], a[184:187], v[42:45], v[90:93]// 000000008E50: D3B5005A 0D6A55B8
	v_mfma_f32_16x16x32_bf16 v[94:97], a[188:191], v[42:45], v[94:97]// 000000008E58: D3B5005E 0D7A55BC
	v_mfma_f32_16x16x32_bf16 v[98:101], a[192:195], v[42:45], v[98:101]// 000000008E60: D3B50062 0D8A55C0
	v_mfma_f32_16x16x32_bf16 v[102:105], a[196:199], v[42:45], v[102:105]// 000000008E68: D3B50066 0D9A55C4
	v_mfma_f32_16x16x32_bf16 v[106:109], a[200:203], v[42:45], v[106:109]// 000000008E70: D3B5006A 0DAA55C8
	v_mfma_f32_16x16x32_bf16 v[110:113], a[204:207], v[42:45], v[110:113]// 000000008E78: D3B5006E 0DBA55CC
	ds_read_b64_tr_b16 a[144:145], v14 offset:8192             // 000000008E80: DBC62000 9000000E
	ds_read_b64_tr_b16 a[146:147], v14 offset:8448             // 000000008E88: DBC62100 9200000E
	ds_read_b64_tr_b16 a[148:149], v15 offset:8192             // 000000008E90: DBC62000 9400000F
	ds_read_b64_tr_b16 a[150:151], v15 offset:8448             // 000000008E98: DBC62100 9600000F
	ds_read_b64_tr_b16 a[152:153], v14 offset:9216             // 000000008EA0: DBC62400 9800000E
	ds_read_b64_tr_b16 a[154:155], v14 offset:9472             // 000000008EA8: DBC62500 9A00000E
	ds_read_b64_tr_b16 a[156:157], v15 offset:9216             // 000000008EB0: DBC62400 9C00000F
	ds_read_b64_tr_b16 a[158:159], v15 offset:9472             // 000000008EB8: DBC62500 9E00000F
	ds_read_b64_tr_b16 a[160:161], v14 offset:10240            // 000000008EC0: DBC62800 A000000E
	ds_read_b64_tr_b16 a[162:163], v14 offset:10496            // 000000008EC8: DBC62900 A200000E
	ds_read_b64_tr_b16 a[164:165], v15 offset:10240            // 000000008ED0: DBC62800 A400000F
	ds_read_b64_tr_b16 a[166:167], v15 offset:10496            // 000000008ED8: DBC62900 A600000F
	ds_read_b64_tr_b16 a[168:169], v14 offset:11264            // 000000008EE0: DBC62C00 A800000E
	ds_read_b64_tr_b16 a[170:171], v14 offset:11520            // 000000008EE8: DBC62D00 AA00000E
	ds_read_b64_tr_b16 a[172:173], v15 offset:11264            // 000000008EF0: DBC62C00 AC00000F
	ds_read_b64_tr_b16 a[174:175], v15 offset:11520            // 000000008EF8: DBC62D00 AE00000F
	ds_read_b64_tr_b16 a[176:177], v14 offset:12288            // 000000008F00: DBC63000 B000000E
	ds_read_b64_tr_b16 a[178:179], v14 offset:12544            // 000000008F08: DBC63100 B200000E
	ds_read_b64_tr_b16 a[180:181], v15 offset:12288            // 000000008F10: DBC63000 B400000F
	ds_read_b64_tr_b16 a[182:183], v15 offset:12544            // 000000008F18: DBC63100 B600000F
	ds_read_b64_tr_b16 a[184:185], v14 offset:13312            // 000000008F20: DBC63400 B800000E
	ds_read_b64_tr_b16 a[186:187], v14 offset:13568            // 000000008F28: DBC63500 BA00000E
	ds_read_b64_tr_b16 a[188:189], v15 offset:13312            // 000000008F30: DBC63400 BC00000F
	ds_read_b64_tr_b16 a[190:191], v15 offset:13568            // 000000008F38: DBC63500 BE00000F
	ds_read_b64_tr_b16 a[192:193], v14 offset:14336            // 000000008F40: DBC63800 C000000E
	ds_read_b64_tr_b16 a[194:195], v14 offset:14592            // 000000008F48: DBC63900 C200000E
	ds_read_b64_tr_b16 a[196:197], v15 offset:14336            // 000000008F50: DBC63800 C400000F
	ds_read_b64_tr_b16 a[198:199], v15 offset:14592            // 000000008F58: DBC63900 C600000F
	ds_read_b64_tr_b16 a[200:201], v14 offset:15360            // 000000008F60: DBC63C00 C800000E
	ds_read_b64_tr_b16 a[202:203], v14 offset:15616            // 000000008F68: DBC63D00 CA00000E
	ds_read_b64_tr_b16 a[204:205], v15 offset:15360            // 000000008F70: DBC63C00 CC00000F
	ds_read_b64_tr_b16 a[206:207], v15 offset:15616            // 000000008F78: DBC63D00 CE00000F
	s_waitcnt vmcnt(0)                                         // 000000008F80: BF8C0F70
	s_barrier                                                  // 000000008F84: BF8A0000
	s_waitcnt lgkmcnt(0)                                       // 000000008F88: BF8CC07F
	v_mfma_f32_16x16x32_bf16 v[114:117], a[144:147], v[42:45], v[114:117]// 000000008F8C: D3B50072 0DCA5590
	ds_read_b128 a[72:75], v18                                 // 000000008F94: DBFE0000 48000012
	ds_read_b128 a[76:79], v18 offset:1024                     // 000000008F9C: DBFE0400 4C000012
	v_mfma_f32_16x16x32_bf16 v[118:121], a[148:151], v[42:45], v[118:121]// 000000008FA4: D3B50076 0DDA5594
	ds_read_b128 a[80:83], v18 offset:2048                     // 000000008FAC: DBFE0800 50000012
	ds_read_b128 a[84:87], v18 offset:3072                     // 000000008FB4: DBFE0C00 54000012
	v_mfma_f32_16x16x32_bf16 v[122:125], a[152:155], v[42:45], v[122:125]// 000000008FBC: D3B5007A 0DEA5598
	ds_read_b128 a[88:91], v18 offset:4096                     // 000000008FC4: DBFE1000 58000012
	ds_read_b128 a[92:95], v18 offset:5120                     // 000000008FCC: DBFE1400 5C000012
	v_mfma_f32_16x16x32_bf16 v[126:129], a[156:159], v[42:45], v[126:129]// 000000008FD4: D3B5007E 0DFA559C
	ds_read_b128 a[96:99], v18 offset:6144                     // 000000008FDC: DBFE1800 60000012
	ds_read_b128 a[100:103], v18 offset:7168                   // 000000008FE4: DBFE1C00 64000012
	v_mfma_f32_16x16x32_bf16 v[130:133], a[160:163], v[42:45], v[130:133]// 000000008FEC: D3B50082 0E0A55A0
	ds_read_b128 a[104:107], v18 offset:8192                   // 000000008FF4: DBFE2000 68000012
	ds_read_b128 a[108:111], v18 offset:9216                   // 000000008FFC: DBFE2400 6C000012
	v_mfma_f32_16x16x32_bf16 v[134:137], a[164:167], v[42:45], v[134:137]// 000000009004: D3B50086 0E1A55A4
	ds_read_b128 a[112:115], v18 offset:10240                  // 00000000900C: DBFE2800 70000012
	ds_read_b128 a[116:119], v18 offset:11264                  // 000000009014: DBFE2C00 74000012
	v_mfma_f32_16x16x32_bf16 v[138:141], a[168:171], v[42:45], v[138:141]// 00000000901C: D3B5008A 0E2A55A8
	ds_read_b128 a[120:123], v18 offset:12288                  // 000000009024: DBFE3000 78000012
	ds_read_b128 a[124:127], v18 offset:13312                  // 00000000902C: DBFE3400 7C000012
	v_mfma_f32_16x16x32_bf16 v[142:145], a[172:175], v[42:45], v[142:145]// 000000009034: D3B5008E 0E3A55AC
	ds_read_b128 a[128:131], v18 offset:14336                  // 00000000903C: DBFE3800 80000012
	ds_read_b128 a[132:135], v18 offset:15360                  // 000000009044: DBFE3C00 84000012
	v_mfma_f32_16x16x32_bf16 v[146:149], a[176:179], v[42:45], v[146:149]// 00000000904C: D3B50092 0E4A55B0
	ds_read_b128 a[136:139], v18 offset:16384                  // 000000009054: DBFE4000 88000012
	ds_read_b128 a[140:143], v18 offset:17408                  // 00000000905C: DBFE4400 8C000012
	v_mfma_f32_16x16x32_bf16 v[150:153], a[180:183], v[42:45], v[150:153]// 000000009064: D3B50096 0E5A55B4
	v_mfma_f32_16x16x32_bf16 v[154:157], a[184:187], v[42:45], v[154:157]// 00000000906C: D3B5009A 0E6A55B8
	v_mfma_f32_16x16x32_bf16 v[158:161], a[188:191], v[42:45], v[158:161]// 000000009074: D3B5009E 0E7A55BC
	v_mfma_f32_16x16x32_bf16 v[162:165], a[192:195], v[42:45], v[162:165]// 00000000907C: D3B500A2 0E8A55C0
	v_mfma_f32_16x16x32_bf16 v[166:169], a[196:199], v[42:45], v[166:169]// 000000009084: D3B500A6 0E9A55C4
	v_mfma_f32_16x16x32_bf16 v[170:173], a[200:203], v[42:45], v[170:173]// 00000000908C: D3B500AA 0EAA55C8
	v_mfma_f32_16x16x32_bf16 v[174:177], a[204:207], v[42:45], v[174:177]// 000000009094: D3B500AE 0EBA55CC
	s_branch label_86A0                                        // 00000000909C: BF8206C0

00000000000090a0 <label_6BA0>:
	s_nop 2                                                    // 0000000090A0: BF800002
	v_mov_b32_e32 v29, v34                                     // 0000000090A4: 7E3A0322
	v_max3_f32 v29, v34, v35, v29                              // 0000000090A8: D1D3001D 04764722
	v_max3_f32 v29, v36, v37, v29                              // 0000000090B0: D1D3001D 04764B24
	v_max3_f32 v29, v38, v39, v29                              // 0000000090B8: D1D3001D 04764F26
	v_max3_f32 v29, v40, v41, v29                              // 0000000090C0: D1D3001D 04765328
	v_mov_b32_e32 v28, v29                                     // 0000000090C8: 7E38031D
	v_mov_b32_e32 v29, v29                                     // 0000000090CC: 7E3A031D
	s_nop 1                                                    // 0000000090D0: BF800001
	v_permlane16_swap_b32_e32 v28, v29                         // 0000000090D4: 7E38B31D
	v_mov_b32_e32 v31, v28                                     // 0000000090D8: 7E3E031C
	v_mov_b32_e32 v30, v29                                     // 0000000090DC: 7E3C031D
	s_nop 1                                                    // 0000000090E0: BF800001
	v_permlane32_swap_b32_e32 v28, v29                         // 0000000090E4: 7E38B51D
	v_permlane32_swap_b32_e32 v30, v31                         // 0000000090E8: 7E3CB51F
	v_max3_f32 v29, v28, v29, v29                              // 0000000090EC: D1D3001D 04763B1C
	v_max3_f32 v29, v30, v31, v29                              // 0000000090F4: D1D3001D 04763F1E
	v_mov_b32_e32 v28, 0xff800000                              // 0000000090FC: 7E3802FF FF800000
	v_cmp_eq_u32_e64 s[36:37], v28, v2                         // 000000009104: D0CA0024 0002051C
	v_max_f32_e32 v29, v29, v2                                 // 00000000910C: 163A051D
	v_sub_f32_e32 v16, v2, v29                                 // 000000009110: 04203B02
	v_cndmask_b32_e64 v16, v16, 0, s[36:37]                    // 000000009114: D1000010 00910110
	v_mov_b32_e32 v2, v29                                      // 00000000911C: 7E04031D
	v_mul_f32_e32 v29, s5, v29                                 // 000000009120: 0A3A3A05
	v_mul_f32_e32 v16, s5, v16                                 // 000000009124: 0A202005
	v_exp_f32_e32 v16, v16                                     // 000000009128: 7E204110
	v_fma_f32 v34, v34, s5, -v29                               // 00000000912C: D1CB0022 84740B22
	v_fma_f32 v35, v35, s5, -v29                               // 000000009134: D1CB0023 84740B23
	v_fma_f32 v36, v36, s5, -v29                               // 00000000913C: D1CB0024 84740B24
	v_fma_f32 v37, v37, s5, -v29                               // 000000009144: D1CB0025 84740B25
	v_fma_f32 v38, v38, s5, -v29                               // 00000000914C: D1CB0026 84740B26
	v_fma_f32 v39, v39, s5, -v29                               // 000000009154: D1CB0027 84740B27
	v_fma_f32 v40, v40, s5, -v29                               // 00000000915C: D1CB0028 84740B28
	v_fma_f32 v41, v41, s5, -v29                               // 000000009164: D1CB0029 84740B29
	v_exp_f32_e32 v34, v34                                     // 00000000916C: 7E444122
	v_exp_f32_e32 v35, v35                                     // 000000009170: 7E464123
	v_exp_f32_e32 v36, v36                                     // 000000009174: 7E484124
	v_exp_f32_e32 v37, v37                                     // 000000009178: 7E4A4125
	v_exp_f32_e32 v38, v38                                     // 00000000917C: 7E4C4126
	v_exp_f32_e32 v39, v39                                     // 000000009180: 7E4E4127
	v_exp_f32_e32 v40, v40                                     // 000000009184: 7E504128
	v_exp_f32_e32 v41, v41                                     // 000000009188: 7E524129
	v_mul_f32_e32 v4, v16, v4                                  // 00000000918C: 0A080910
	v_mov_b32_e32 v28, v34                                     // 000000009190: 7E380322
	v_add_f32_e32 v28, v35, v28                                // 000000009194: 02383923
	v_add_f32_e32 v28, v36, v28                                // 000000009198: 02383924
	v_add_f32_e32 v28, v37, v28                                // 00000000919C: 02383925
	v_add_f32_e32 v28, v38, v28                                // 0000000091A0: 02383926
	v_add_f32_e32 v28, v39, v28                                // 0000000091A4: 02383927
	v_add_f32_e32 v28, v40, v28                                // 0000000091A8: 02383928
	v_add_f32_e32 v28, v41, v28                                // 0000000091AC: 02383929
	v_add_f32_e32 v4, v28, v4                                  // 0000000091B0: 0208091C
	v_cvt_pk_bf16_f32 v34, v34, v35                            // 0000000091B4: D2680022 00024722
	v_cvt_pk_bf16_f32 v35, v36, v37                            // 0000000091BC: D2680023 00024B24
	v_cvt_pk_bf16_f32 v36, v38, v39                            // 0000000091C4: D2680024 00024F26
	v_cvt_pk_bf16_f32 v37, v40, v41                            // 0000000091CC: D2680025 00025328
	s_nop 0                                                    // 0000000091D4: BF800000
	v_permlane32_swap_b32_e32 v34, v36                         // 0000000091D8: 7E44B524
	v_permlane32_swap_b32_e32 v35, v37                         // 0000000091DC: 7E46B525
	s_nop 0                                                    // 0000000091E0: BF800000
	v_permlane16_swap_b32_e32 v34, v36                         // 0000000091E4: 7E44B324
	v_permlane16_swap_b32_e32 v35, v37                         // 0000000091E8: 7E46B325
	s_waitcnt lgkmcnt(4)                                       // 0000000091EC: BF8CC47F
	v_mfma_f32_16x16x32_bf16 v[50:53], a[144:147], v[42:45], v[50:53]// 0000000091F0: D3B50032 0CCA5590
	v_mfma_f32_16x16x32_bf16 v[54:57], a[148:151], v[42:45], v[54:57]// 0000000091F8: D3B50036 0CDA5594
	v_mfma_f32_16x16x32_bf16 v[58:61], a[152:155], v[42:45], v[58:61]// 000000009200: D3B5003A 0CEA5598
	v_mfma_f32_16x16x32_bf16 v[62:65], a[156:159], v[42:45], v[62:65]// 000000009208: D3B5003E 0CFA559C
	v_mfma_f32_16x16x32_bf16 v[66:69], a[160:163], v[42:45], v[66:69]// 000000009210: D3B50042 0D0A55A0
	v_mfma_f32_16x16x32_bf16 v[70:73], a[164:167], v[42:45], v[70:73]// 000000009218: D3B50046 0D1A55A4
	v_mfma_f32_16x16x32_bf16 v[74:77], a[168:171], v[42:45], v[74:77]// 000000009220: D3B5004A 0D2A55A8
	v_mfma_f32_16x16x32_bf16 v[78:81], a[172:175], v[42:45], v[78:81]// 000000009228: D3B5004E 0D3A55AC
	v_mfma_f32_16x16x32_bf16 v[82:85], a[176:179], v[42:45], v[82:85]// 000000009230: D3B50052 0D4A55B0
	v_mfma_f32_16x16x32_bf16 v[86:89], a[180:183], v[42:45], v[86:89]// 000000009238: D3B50056 0D5A55B4
	v_mfma_f32_16x16x32_bf16 v[90:93], a[184:187], v[42:45], v[90:93]// 000000009240: D3B5005A 0D6A55B8
	v_mfma_f32_16x16x32_bf16 v[94:97], a[188:191], v[42:45], v[94:97]// 000000009248: D3B5005E 0D7A55BC
	v_mfma_f32_16x16x32_bf16 v[98:101], a[192:195], v[42:45], v[98:101]// 000000009250: D3B50062 0D8A55C0
	v_mfma_f32_16x16x32_bf16 v[102:105], a[196:199], v[42:45], v[102:105]// 000000009258: D3B50066 0D9A55C4
	v_mfma_f32_16x16x32_bf16 v[106:109], a[200:203], v[42:45], v[106:109]// 000000009260: D3B5006A 0DAA55C8
	v_mfma_f32_16x16x32_bf16 v[110:113], a[204:207], v[42:45], v[110:113]// 000000009268: D3B5006E 0DBA55CC
	ds_read_b64_tr_b16 a[144:145], v14 offset:8192             // 000000009270: DBC62000 9000000E
	ds_read_b64_tr_b16 a[146:147], v14 offset:8448             // 000000009278: DBC62100 9200000E
	ds_read_b64_tr_b16 a[148:149], v15 offset:8192             // 000000009280: DBC62000 9400000F
	ds_read_b64_tr_b16 a[150:151], v15 offset:8448             // 000000009288: DBC62100 9600000F
	ds_read_b64_tr_b16 a[152:153], v14 offset:9216             // 000000009290: DBC62400 9800000E
	ds_read_b64_tr_b16 a[154:155], v14 offset:9472             // 000000009298: DBC62500 9A00000E
	ds_read_b64_tr_b16 a[156:157], v15 offset:9216             // 0000000092A0: DBC62400 9C00000F
	ds_read_b64_tr_b16 a[158:159], v15 offset:9472             // 0000000092A8: DBC62500 9E00000F
	ds_read_b64_tr_b16 a[160:161], v14 offset:10240            // 0000000092B0: DBC62800 A000000E
	ds_read_b64_tr_b16 a[162:163], v14 offset:10496            // 0000000092B8: DBC62900 A200000E
	ds_read_b64_tr_b16 a[164:165], v15 offset:10240            // 0000000092C0: DBC62800 A400000F
	ds_read_b64_tr_b16 a[166:167], v15 offset:10496            // 0000000092C8: DBC62900 A600000F
	ds_read_b64_tr_b16 a[168:169], v14 offset:11264            // 0000000092D0: DBC62C00 A800000E
	ds_read_b64_tr_b16 a[170:171], v14 offset:11520            // 0000000092D8: DBC62D00 AA00000E
	ds_read_b64_tr_b16 a[172:173], v15 offset:11264            // 0000000092E0: DBC62C00 AC00000F
	ds_read_b64_tr_b16 a[174:175], v15 offset:11520            // 0000000092E8: DBC62D00 AE00000F
	ds_read_b64_tr_b16 a[176:177], v14 offset:12288            // 0000000092F0: DBC63000 B000000E
	ds_read_b64_tr_b16 a[178:179], v14 offset:12544            // 0000000092F8: DBC63100 B200000E
	ds_read_b64_tr_b16 a[180:181], v15 offset:12288            // 000000009300: DBC63000 B400000F
	ds_read_b64_tr_b16 a[182:183], v15 offset:12544            // 000000009308: DBC63100 B600000F
	ds_read_b64_tr_b16 a[184:185], v14 offset:13312            // 000000009310: DBC63400 B800000E
	ds_read_b64_tr_b16 a[186:187], v14 offset:13568            // 000000009318: DBC63500 BA00000E
	ds_read_b64_tr_b16 a[188:189], v15 offset:13312            // 000000009320: DBC63400 BC00000F
	ds_read_b64_tr_b16 a[190:191], v15 offset:13568            // 000000009328: DBC63500 BE00000F
	ds_read_b64_tr_b16 a[192:193], v14 offset:14336            // 000000009330: DBC63800 C000000E
	ds_read_b64_tr_b16 a[194:195], v14 offset:14592            // 000000009338: DBC63900 C200000E
	ds_read_b64_tr_b16 a[196:197], v15 offset:14336            // 000000009340: DBC63800 C400000F
	ds_read_b64_tr_b16 a[198:199], v15 offset:14592            // 000000009348: DBC63900 C600000F
	ds_read_b64_tr_b16 a[200:201], v14 offset:15360            // 000000009350: DBC63C00 C800000E
	ds_read_b64_tr_b16 a[202:203], v14 offset:15616            // 000000009358: DBC63D00 CA00000E
	ds_read_b64_tr_b16 a[204:205], v15 offset:15360            // 000000009360: DBC63C00 CC00000F
	ds_read_b64_tr_b16 a[206:207], v15 offset:15616            // 000000009368: DBC63D00 CE00000F
	s_waitcnt lgkmcnt(0)                                       // 000000009370: BF8CC07F
	v_mfma_f32_16x16x32_bf16 v[114:117], a[144:147], v[42:45], v[114:117]// 000000009374: D3B50072 0DCA5590
	v_mfma_f32_16x16x32_bf16 v[118:121], a[148:151], v[42:45], v[118:121]// 00000000937C: D3B50076 0DDA5594
	v_mfma_f32_16x16x32_bf16 v[122:125], a[152:155], v[42:45], v[122:125]// 000000009384: D3B5007A 0DEA5598
	v_mfma_f32_16x16x32_bf16 v[126:129], a[156:159], v[42:45], v[126:129]// 00000000938C: D3B5007E 0DFA559C
	v_mfma_f32_16x16x32_bf16 v[130:133], a[160:163], v[42:45], v[130:133]// 000000009394: D3B50082 0E0A55A0
	v_mfma_f32_16x16x32_bf16 v[134:137], a[164:167], v[42:45], v[134:137]// 00000000939C: D3B50086 0E1A55A4
	v_mfma_f32_16x16x32_bf16 v[138:141], a[168:171], v[42:45], v[138:141]// 0000000093A4: D3B5008A 0E2A55A8
	v_mfma_f32_16x16x32_bf16 v[142:145], a[172:175], v[42:45], v[142:145]// 0000000093AC: D3B5008E 0E3A55AC
	v_mfma_f32_16x16x32_bf16 v[146:149], a[176:179], v[42:45], v[146:149]// 0000000093B4: D3B50092 0E4A55B0
	v_mfma_f32_16x16x32_bf16 v[150:153], a[180:183], v[42:45], v[150:153]// 0000000093BC: D3B50096 0E5A55B4
	v_mfma_f32_16x16x32_bf16 v[154:157], a[184:187], v[42:45], v[154:157]// 0000000093C4: D3B5009A 0E6A55B8
	v_mfma_f32_16x16x32_bf16 v[158:161], a[188:191], v[42:45], v[158:161]// 0000000093CC: D3B5009E 0E7A55BC
	v_mfma_f32_16x16x32_bf16 v[162:165], a[192:195], v[42:45], v[162:165]// 0000000093D4: D3B500A2 0E8A55C0
	v_mfma_f32_16x16x32_bf16 v[166:169], a[196:199], v[42:45], v[166:169]// 0000000093DC: D3B500A6 0E9A55C4
	v_mfma_f32_16x16x32_bf16 v[170:173], a[200:203], v[42:45], v[170:173]// 0000000093E4: D3B500AA 0EAA55C8
	v_mfma_f32_16x16x32_bf16 v[174:177], a[204:207], v[42:45], v[174:177]// 0000000093EC: D3B500AE 0EBA55CC
	ds_read_b64_tr_b16 a[144:145], v8                          // 0000000093F4: DBC60000 90000008
	ds_read_b64_tr_b16 a[146:147], v8 offset:256               // 0000000093FC: DBC60100 92000008
	ds_read_b64_tr_b16 a[148:149], v9                          // 000000009404: DBC60000 94000009
	ds_read_b64_tr_b16 a[150:151], v9 offset:256               // 00000000940C: DBC60100 96000009
	ds_read_b64_tr_b16 a[152:153], v8 offset:1024              // 000000009414: DBC60400 98000008
	ds_read_b64_tr_b16 a[154:155], v8 offset:1280              // 00000000941C: DBC60500 9A000008
	ds_read_b64_tr_b16 a[156:157], v9 offset:1024              // 000000009424: DBC60400 9C000009
	ds_read_b64_tr_b16 a[158:159], v9 offset:1280              // 00000000942C: DBC60500 9E000009
	ds_read_b64_tr_b16 a[160:161], v8 offset:2048              // 000000009434: DBC60800 A0000008
	ds_read_b64_tr_b16 a[162:163], v8 offset:2304              // 00000000943C: DBC60900 A2000008
	ds_read_b64_tr_b16 a[164:165], v9 offset:2048              // 000000009444: DBC60800 A4000009
	ds_read_b64_tr_b16 a[166:167], v9 offset:2304              // 00000000944C: DBC60900 A6000009
	ds_read_b64_tr_b16 a[168:169], v8 offset:3072              // 000000009454: DBC60C00 A8000008
	ds_read_b64_tr_b16 a[170:171], v8 offset:3328              // 00000000945C: DBC60D00 AA000008
	ds_read_b64_tr_b16 a[172:173], v9 offset:3072              // 000000009464: DBC60C00 AC000009
	ds_read_b64_tr_b16 a[174:175], v9 offset:3328              // 00000000946C: DBC60D00 AE000009
	ds_read_b64_tr_b16 a[176:177], v8 offset:4096              // 000000009474: DBC61000 B0000008
	ds_read_b64_tr_b16 a[178:179], v8 offset:4352              // 00000000947C: DBC61100 B2000008
	ds_read_b64_tr_b16 a[180:181], v9 offset:4096              // 000000009484: DBC61000 B4000009
	ds_read_b64_tr_b16 a[182:183], v9 offset:4352              // 00000000948C: DBC61100 B6000009
	ds_read_b64_tr_b16 a[184:185], v8 offset:5120              // 000000009494: DBC61400 B8000008
	ds_read_b64_tr_b16 a[186:187], v8 offset:5376              // 00000000949C: DBC61500 BA000008
	ds_read_b64_tr_b16 a[188:189], v9 offset:5120              // 0000000094A4: DBC61400 BC000009
	ds_read_b64_tr_b16 a[190:191], v9 offset:5376              // 0000000094AC: DBC61500 BE000009
	ds_read_b64_tr_b16 a[192:193], v8 offset:6144              // 0000000094B4: DBC61800 C0000008
	ds_read_b64_tr_b16 a[194:195], v8 offset:6400              // 0000000094BC: DBC61900 C2000008
	ds_read_b64_tr_b16 a[196:197], v9 offset:6144              // 0000000094C4: DBC61800 C4000009
	ds_read_b64_tr_b16 a[198:199], v9 offset:6400              // 0000000094CC: DBC61900 C6000009
	ds_read_b64_tr_b16 a[200:201], v8 offset:7168              // 0000000094D4: DBC61C00 C8000008
	ds_read_b64_tr_b16 a[202:203], v8 offset:7424              // 0000000094DC: DBC61D00 CA000008
	ds_read_b64_tr_b16 a[204:205], v9 offset:7168              // 0000000094E4: DBC61C00 CC000009
	ds_read_b64_tr_b16 a[206:207], v9 offset:7424              // 0000000094EC: DBC61D00 CE000009
	v_mov_b32_e32 v30, v16                                     // 0000000094F4: 7E3C0310
	v_mov_b32_e32 v31, v16                                     // 0000000094F8: 7E3E0310
	v_pk_mul_f32 v[50:51], v[30:31], v[50:51]                  // 0000000094FC: D3B14032 1802651E
	v_pk_mul_f32 v[52:53], v[30:31], v[52:53]                  // 000000009504: D3B14034 1802691E
	v_pk_mul_f32 v[54:55], v[30:31], v[54:55]                  // 00000000950C: D3B14036 18026D1E
	v_pk_mul_f32 v[56:57], v[30:31], v[56:57]                  // 000000009514: D3B14038 1802711E
	v_pk_mul_f32 v[58:59], v[30:31], v[58:59]                  // 00000000951C: D3B1403A 1802751E
	v_pk_mul_f32 v[60:61], v[30:31], v[60:61]                  // 000000009524: D3B1403C 1802791E
	v_pk_mul_f32 v[62:63], v[30:31], v[62:63]                  // 00000000952C: D3B1403E 18027D1E
	v_pk_mul_f32 v[64:65], v[30:31], v[64:65]                  // 000000009534: D3B14040 1802811E
	v_pk_mul_f32 v[66:67], v[30:31], v[66:67]                  // 00000000953C: D3B14042 1802851E
	v_pk_mul_f32 v[68:69], v[30:31], v[68:69]                  // 000000009544: D3B14044 1802891E
	v_pk_mul_f32 v[70:71], v[30:31], v[70:71]                  // 00000000954C: D3B14046 18028D1E
	v_pk_mul_f32 v[72:73], v[30:31], v[72:73]                  // 000000009554: D3B14048 1802911E
	v_pk_mul_f32 v[74:75], v[30:31], v[74:75]                  // 00000000955C: D3B1404A 1802951E
	v_pk_mul_f32 v[76:77], v[30:31], v[76:77]                  // 000000009564: D3B1404C 1802991E
	v_pk_mul_f32 v[78:79], v[30:31], v[78:79]                  // 00000000956C: D3B1404E 18029D1E
	v_pk_mul_f32 v[80:81], v[30:31], v[80:81]                  // 000000009574: D3B14050 1802A11E
	v_pk_mul_f32 v[82:83], v[30:31], v[82:83]                  // 00000000957C: D3B14052 1802A51E
	v_pk_mul_f32 v[84:85], v[30:31], v[84:85]                  // 000000009584: D3B14054 1802A91E
	v_pk_mul_f32 v[86:87], v[30:31], v[86:87]                  // 00000000958C: D3B14056 1802AD1E
	v_pk_mul_f32 v[88:89], v[30:31], v[88:89]                  // 000000009594: D3B14058 1802B11E
	v_pk_mul_f32 v[90:91], v[30:31], v[90:91]                  // 00000000959C: D3B1405A 1802B51E
	v_pk_mul_f32 v[92:93], v[30:31], v[92:93]                  // 0000000095A4: D3B1405C 1802B91E
	v_pk_mul_f32 v[94:95], v[30:31], v[94:95]                  // 0000000095AC: D3B1405E 1802BD1E
	v_pk_mul_f32 v[96:97], v[30:31], v[96:97]                  // 0000000095B4: D3B14060 1802C11E
	v_pk_mul_f32 v[98:99], v[30:31], v[98:99]                  // 0000000095BC: D3B14062 1802C51E
	v_pk_mul_f32 v[100:101], v[30:31], v[100:101]              // 0000000095C4: D3B14064 1802C91E
	v_pk_mul_f32 v[102:103], v[30:31], v[102:103]              // 0000000095CC: D3B14066 1802CD1E
	v_pk_mul_f32 v[104:105], v[30:31], v[104:105]              // 0000000095D4: D3B14068 1802D11E
	v_pk_mul_f32 v[106:107], v[30:31], v[106:107]              // 0000000095DC: D3B1406A 1802D51E
	v_pk_mul_f32 v[108:109], v[30:31], v[108:109]              // 0000000095E4: D3B1406C 1802D91E
	v_pk_mul_f32 v[110:111], v[30:31], v[110:111]              // 0000000095EC: D3B1406E 1802DD1E
	v_pk_mul_f32 v[112:113], v[30:31], v[112:113]              // 0000000095F4: D3B14070 1802E11E
	v_pk_mul_f32 v[114:115], v[30:31], v[114:115]              // 0000000095FC: D3B14072 1802E51E
	v_pk_mul_f32 v[116:117], v[30:31], v[116:117]              // 000000009604: D3B14074 1802E91E
	v_pk_mul_f32 v[118:119], v[30:31], v[118:119]              // 00000000960C: D3B14076 1802ED1E
	v_pk_mul_f32 v[120:121], v[30:31], v[120:121]              // 000000009614: D3B14078 1802F11E
	v_pk_mul_f32 v[122:123], v[30:31], v[122:123]              // 00000000961C: D3B1407A 1802F51E
	v_pk_mul_f32 v[124:125], v[30:31], v[124:125]              // 000000009624: D3B1407C 1802F91E
	v_pk_mul_f32 v[126:127], v[30:31], v[126:127]              // 00000000962C: D3B1407E 1802FD1E
	v_pk_mul_f32 v[128:129], v[30:31], v[128:129]              // 000000009634: D3B14080 1803011E
	v_pk_mul_f32 v[130:131], v[30:31], v[130:131]              // 00000000963C: D3B14082 1803051E
	v_pk_mul_f32 v[132:133], v[30:31], v[132:133]              // 000000009644: D3B14084 1803091E
	v_pk_mul_f32 v[134:135], v[30:31], v[134:135]              // 00000000964C: D3B14086 18030D1E
	v_pk_mul_f32 v[136:137], v[30:31], v[136:137]              // 000000009654: D3B14088 1803111E
	v_pk_mul_f32 v[138:139], v[30:31], v[138:139]              // 00000000965C: D3B1408A 1803151E
	v_pk_mul_f32 v[140:141], v[30:31], v[140:141]              // 000000009664: D3B1408C 1803191E
	v_pk_mul_f32 v[142:143], v[30:31], v[142:143]              // 00000000966C: D3B1408E 18031D1E
	v_pk_mul_f32 v[144:145], v[30:31], v[144:145]              // 000000009674: D3B14090 1803211E
	v_pk_mul_f32 v[146:147], v[30:31], v[146:147]              // 00000000967C: D3B14092 1803251E
	v_pk_mul_f32 v[148:149], v[30:31], v[148:149]              // 000000009684: D3B14094 1803291E
	v_pk_mul_f32 v[150:151], v[30:31], v[150:151]              // 00000000968C: D3B14096 18032D1E
	v_pk_mul_f32 v[152:153], v[30:31], v[152:153]              // 000000009694: D3B14098 1803311E
	v_pk_mul_f32 v[154:155], v[30:31], v[154:155]              // 00000000969C: D3B1409A 1803351E
	v_pk_mul_f32 v[156:157], v[30:31], v[156:157]              // 0000000096A4: D3B1409C 1803391E
	v_pk_mul_f32 v[158:159], v[30:31], v[158:159]              // 0000000096AC: D3B1409E 18033D1E
	v_pk_mul_f32 v[160:161], v[30:31], v[160:161]              // 0000000096B4: D3B140A0 1803411E
	v_pk_mul_f32 v[162:163], v[30:31], v[162:163]              // 0000000096BC: D3B140A2 1803451E
	v_pk_mul_f32 v[164:165], v[30:31], v[164:165]              // 0000000096C4: D3B140A4 1803491E
	v_pk_mul_f32 v[166:167], v[30:31], v[166:167]              // 0000000096CC: D3B140A6 18034D1E
	v_pk_mul_f32 v[168:169], v[30:31], v[168:169]              // 0000000096D4: D3B140A8 1803511E
	v_pk_mul_f32 v[170:171], v[30:31], v[170:171]              // 0000000096DC: D3B140AA 1803551E
	v_pk_mul_f32 v[172:173], v[30:31], v[172:173]              // 0000000096E4: D3B140AC 1803591E
	v_pk_mul_f32 v[174:175], v[30:31], v[174:175]              // 0000000096EC: D3B140AE 18035D1E
	v_pk_mul_f32 v[176:177], v[30:31], v[176:177]              // 0000000096F4: D3B140B0 1803611E
	s_waitcnt lgkmcnt(4)                                       // 0000000096FC: BF8CC47F
	v_mfma_f32_16x16x32_bf16 v[50:53], a[144:147], v[34:37], v[50:53]// 000000009700: D3B50032 0CCA4590
	v_mfma_f32_16x16x32_bf16 v[54:57], a[148:151], v[34:37], v[54:57]// 000000009708: D3B50036 0CDA4594
	v_mfma_f32_16x16x32_bf16 v[58:61], a[152:155], v[34:37], v[58:61]// 000000009710: D3B5003A 0CEA4598
	v_mfma_f32_16x16x32_bf16 v[62:65], a[156:159], v[34:37], v[62:65]// 000000009718: D3B5003E 0CFA459C
	v_mfma_f32_16x16x32_bf16 v[66:69], a[160:163], v[34:37], v[66:69]// 000000009720: D3B50042 0D0A45A0
	v_mfma_f32_16x16x32_bf16 v[70:73], a[164:167], v[34:37], v[70:73]// 000000009728: D3B50046 0D1A45A4
	v_mfma_f32_16x16x32_bf16 v[74:77], a[168:171], v[34:37], v[74:77]// 000000009730: D3B5004A 0D2A45A8
	v_mfma_f32_16x16x32_bf16 v[78:81], a[172:175], v[34:37], v[78:81]// 000000009738: D3B5004E 0D3A45AC
	v_mfma_f32_16x16x32_bf16 v[82:85], a[176:179], v[34:37], v[82:85]// 000000009740: D3B50052 0D4A45B0
	v_mfma_f32_16x16x32_bf16 v[86:89], a[180:183], v[34:37], v[86:89]// 000000009748: D3B50056 0D5A45B4
	v_mfma_f32_16x16x32_bf16 v[90:93], a[184:187], v[34:37], v[90:93]// 000000009750: D3B5005A 0D6A45B8
	v_mfma_f32_16x16x32_bf16 v[94:97], a[188:191], v[34:37], v[94:97]// 000000009758: D3B5005E 0D7A45BC
	v_mfma_f32_16x16x32_bf16 v[98:101], a[192:195], v[34:37], v[98:101]// 000000009760: D3B50062 0D8A45C0
	v_mfma_f32_16x16x32_bf16 v[102:105], a[196:199], v[34:37], v[102:105]// 000000009768: D3B50066 0D9A45C4
	v_mfma_f32_16x16x32_bf16 v[106:109], a[200:203], v[34:37], v[106:109]// 000000009770: D3B5006A 0DAA45C8
	v_mfma_f32_16x16x32_bf16 v[110:113], a[204:207], v[34:37], v[110:113]// 000000009778: D3B5006E 0DBA45CC
	ds_read_b64_tr_b16 a[144:145], v8 offset:8192              // 000000009780: DBC62000 90000008
	ds_read_b64_tr_b16 a[146:147], v8 offset:8448              // 000000009788: DBC62100 92000008
	ds_read_b64_tr_b16 a[148:149], v9 offset:8192              // 000000009790: DBC62000 94000009
	ds_read_b64_tr_b16 a[150:151], v9 offset:8448              // 000000009798: DBC62100 96000009
	ds_read_b64_tr_b16 a[152:153], v8 offset:9216              // 0000000097A0: DBC62400 98000008
	ds_read_b64_tr_b16 a[154:155], v8 offset:9472              // 0000000097A8: DBC62500 9A000008
	ds_read_b64_tr_b16 a[156:157], v9 offset:9216              // 0000000097B0: DBC62400 9C000009
	ds_read_b64_tr_b16 a[158:159], v9 offset:9472              // 0000000097B8: DBC62500 9E000009
	ds_read_b64_tr_b16 a[160:161], v8 offset:10240             // 0000000097C0: DBC62800 A0000008
	ds_read_b64_tr_b16 a[162:163], v8 offset:10496             // 0000000097C8: DBC62900 A2000008
	ds_read_b64_tr_b16 a[164:165], v9 offset:10240             // 0000000097D0: DBC62800 A4000009
	ds_read_b64_tr_b16 a[166:167], v9 offset:10496             // 0000000097D8: DBC62900 A6000009
	ds_read_b64_tr_b16 a[168:169], v8 offset:11264             // 0000000097E0: DBC62C00 A8000008
	ds_read_b64_tr_b16 a[170:171], v8 offset:11520             // 0000000097E8: DBC62D00 AA000008
	ds_read_b64_tr_b16 a[172:173], v9 offset:11264             // 0000000097F0: DBC62C00 AC000009
	ds_read_b64_tr_b16 a[174:175], v9 offset:11520             // 0000000097F8: DBC62D00 AE000009
	ds_read_b64_tr_b16 a[176:177], v8 offset:12288             // 000000009800: DBC63000 B0000008
	ds_read_b64_tr_b16 a[178:179], v8 offset:12544             // 000000009808: DBC63100 B2000008
	ds_read_b64_tr_b16 a[180:181], v9 offset:12288             // 000000009810: DBC63000 B4000009
	ds_read_b64_tr_b16 a[182:183], v9 offset:12544             // 000000009818: DBC63100 B6000009
	ds_read_b64_tr_b16 a[184:185], v8 offset:13312             // 000000009820: DBC63400 B8000008
	ds_read_b64_tr_b16 a[186:187], v8 offset:13568             // 000000009828: DBC63500 BA000008
	ds_read_b64_tr_b16 a[188:189], v9 offset:13312             // 000000009830: DBC63400 BC000009
	ds_read_b64_tr_b16 a[190:191], v9 offset:13568             // 000000009838: DBC63500 BE000009
	ds_read_b64_tr_b16 a[192:193], v8 offset:14336             // 000000009840: DBC63800 C0000008
	ds_read_b64_tr_b16 a[194:195], v8 offset:14592             // 000000009848: DBC63900 C2000008
	ds_read_b64_tr_b16 a[196:197], v9 offset:14336             // 000000009850: DBC63800 C4000009
	ds_read_b64_tr_b16 a[198:199], v9 offset:14592             // 000000009858: DBC63900 C6000009
	ds_read_b64_tr_b16 a[200:201], v8 offset:15360             // 000000009860: DBC63C00 C8000008
	ds_read_b64_tr_b16 a[202:203], v8 offset:15616             // 000000009868: DBC63D00 CA000008
	ds_read_b64_tr_b16 a[204:205], v9 offset:15360             // 000000009870: DBC63C00 CC000009
	ds_read_b64_tr_b16 a[206:207], v9 offset:15616             // 000000009878: DBC63D00 CE000009
	s_waitcnt vmcnt(0)                                         // 000000009880: BF8C0F70
	s_barrier                                                  // 000000009884: BF8A0000
	s_waitcnt lgkmcnt(0)                                       // 000000009888: BF8CC07F
	v_mfma_f32_16x16x32_bf16 v[114:117], a[144:147], v[34:37], v[114:117]// 00000000988C: D3B50072 0DCA4590
	ds_read_b128 a[72:75], v19                                 // 000000009894: DBFE0000 48000013
	ds_read_b128 a[76:79], v19 offset:1024                     // 00000000989C: DBFE0400 4C000013
	v_mfma_f32_16x16x32_bf16 v[118:121], a[148:151], v[34:37], v[118:121]// 0000000098A4: D3B50076 0DDA4594
	ds_read_b128 a[80:83], v19 offset:2048                     // 0000000098AC: DBFE0800 50000013
	ds_read_b128 a[84:87], v19 offset:3072                     // 0000000098B4: DBFE0C00 54000013
	v_mfma_f32_16x16x32_bf16 v[122:125], a[152:155], v[34:37], v[122:125]// 0000000098BC: D3B5007A 0DEA4598
	ds_read_b128 a[88:91], v19 offset:4096                     // 0000000098C4: DBFE1000 58000013
	ds_read_b128 a[92:95], v19 offset:5120                     // 0000000098CC: DBFE1400 5C000013
	v_mfma_f32_16x16x32_bf16 v[126:129], a[156:159], v[34:37], v[126:129]// 0000000098D4: D3B5007E 0DFA459C
	ds_read_b128 a[96:99], v19 offset:6144                     // 0000000098DC: DBFE1800 60000013
	ds_read_b128 a[100:103], v19 offset:7168                   // 0000000098E4: DBFE1C00 64000013
	v_mfma_f32_16x16x32_bf16 v[130:133], a[160:163], v[34:37], v[130:133]// 0000000098EC: D3B50082 0E0A45A0
	ds_read_b128 a[104:107], v19 offset:8192                   // 0000000098F4: DBFE2000 68000013
	ds_read_b128 a[108:111], v19 offset:9216                   // 0000000098FC: DBFE2400 6C000013
	v_mfma_f32_16x16x32_bf16 v[134:137], a[164:167], v[34:37], v[134:137]// 000000009904: D3B50086 0E1A45A4
	ds_read_b128 a[112:115], v19 offset:10240                  // 00000000990C: DBFE2800 70000013
	ds_read_b128 a[116:119], v19 offset:11264                  // 000000009914: DBFE2C00 74000013
	v_mfma_f32_16x16x32_bf16 v[138:141], a[168:171], v[34:37], v[138:141]// 00000000991C: D3B5008A 0E2A45A8
	ds_read_b128 a[120:123], v19 offset:12288                  // 000000009924: DBFE3000 78000013
	ds_read_b128 a[124:127], v19 offset:13312                  // 00000000992C: DBFE3400 7C000013
	v_mfma_f32_16x16x32_bf16 v[142:145], a[172:175], v[34:37], v[142:145]// 000000009934: D3B5008E 0E3A45AC
	ds_read_b128 a[128:131], v19 offset:14336                  // 00000000993C: DBFE3800 80000013
	ds_read_b128 a[132:135], v19 offset:15360                  // 000000009944: DBFE3C00 84000013
	v_mfma_f32_16x16x32_bf16 v[146:149], a[176:179], v[34:37], v[146:149]// 00000000994C: D3B50092 0E4A45B0
	ds_read_b128 a[136:139], v19 offset:16384                  // 000000009954: DBFE4000 88000013
	ds_read_b128 a[140:143], v19 offset:17408                  // 00000000995C: DBFE4400 8C000013
	v_mfma_f32_16x16x32_bf16 v[150:153], a[180:183], v[34:37], v[150:153]// 000000009964: D3B50096 0E5A45B4
	v_mfma_f32_16x16x32_bf16 v[154:157], a[184:187], v[34:37], v[154:157]// 00000000996C: D3B5009A 0E6A45B8
	v_mfma_f32_16x16x32_bf16 v[158:161], a[188:191], v[34:37], v[158:161]// 000000009974: D3B5009E 0E7A45BC
	v_mfma_f32_16x16x32_bf16 v[162:165], a[192:195], v[34:37], v[162:165]// 00000000997C: D3B500A2 0E8A45C0
	v_mfma_f32_16x16x32_bf16 v[166:169], a[196:199], v[34:37], v[166:169]// 000000009984: D3B500A6 0E9A45C4
	v_mfma_f32_16x16x32_bf16 v[170:173], a[200:203], v[34:37], v[170:173]// 00000000998C: D3B500AA 0EAA45C8
	v_mfma_f32_16x16x32_bf16 v[174:177], a[204:207], v[34:37], v[174:177]// 000000009994: D3B500AE 0EBA45CC
	s_branch label_86A0                                        // 00000000999C: BF820480

00000000000099a0 <label_74A0>:
	s_nop 2                                                    // 0000000099A0: BF800002
	v_mov_b32_e32 v29, v42                                     // 0000000099A4: 7E3A032A
	v_max3_f32 v29, v42, v43, v29                              // 0000000099A8: D1D3001D 0476572A
	v_max3_f32 v29, v44, v45, v29                              // 0000000099B0: D1D3001D 04765B2C
	v_max3_f32 v29, v46, v47, v29                              // 0000000099B8: D1D3001D 04765F2E
	v_max3_f32 v29, v48, v49, v29                              // 0000000099C0: D1D3001D 04766330
	v_mov_b32_e32 v28, v29                                     // 0000000099C8: 7E38031D
	v_mov_b32_e32 v29, v29                                     // 0000000099CC: 7E3A031D
	s_nop 1                                                    // 0000000099D0: BF800001
	v_permlane16_swap_b32_e32 v28, v29                         // 0000000099D4: 7E38B31D
	v_mov_b32_e32 v31, v28                                     // 0000000099D8: 7E3E031C
	v_mov_b32_e32 v30, v29                                     // 0000000099DC: 7E3C031D
	s_nop 1                                                    // 0000000099E0: BF800001
	v_permlane32_swap_b32_e32 v28, v29                         // 0000000099E4: 7E38B51D
	v_permlane32_swap_b32_e32 v30, v31                         // 0000000099E8: 7E3CB51F
	v_max3_f32 v29, v28, v29, v29                              // 0000000099EC: D1D3001D 04763B1C
	v_max3_f32 v29, v30, v31, v29                              // 0000000099F4: D1D3001D 04763F1E
	v_mov_b32_e32 v28, 0xff800000                              // 0000000099FC: 7E3802FF FF800000
	v_cmp_eq_u32_e64 s[36:37], v28, v2                         // 000000009A04: D0CA0024 0002051C
	v_max_f32_e32 v29, v29, v2                                 // 000000009A0C: 163A051D
	v_sub_f32_e32 v16, v2, v29                                 // 000000009A10: 04203B02
	v_cndmask_b32_e64 v16, v16, 0, s[36:37]                    // 000000009A14: D1000010 00910110
	v_mov_b32_e32 v2, v29                                      // 000000009A1C: 7E04031D
	v_mul_f32_e32 v29, s5, v29                                 // 000000009A20: 0A3A3A05
	v_mul_f32_e32 v16, s5, v16                                 // 000000009A24: 0A202005
	v_exp_f32_e32 v16, v16                                     // 000000009A28: 7E204110
	v_fma_f32 v42, v42, s5, -v29                               // 000000009A2C: D1CB002A 84740B2A
	v_fma_f32 v43, v43, s5, -v29                               // 000000009A34: D1CB002B 84740B2B
	v_fma_f32 v44, v44, s5, -v29                               // 000000009A3C: D1CB002C 84740B2C
	v_fma_f32 v45, v45, s5, -v29                               // 000000009A44: D1CB002D 84740B2D
	v_fma_f32 v46, v46, s5, -v29                               // 000000009A4C: D1CB002E 84740B2E
	v_fma_f32 v47, v47, s5, -v29                               // 000000009A54: D1CB002F 84740B2F
	v_fma_f32 v48, v48, s5, -v29                               // 000000009A5C: D1CB0030 84740B30
	v_fma_f32 v49, v49, s5, -v29                               // 000000009A64: D1CB0031 84740B31
	v_exp_f32_e32 v42, v42                                     // 000000009A6C: 7E54412A
	v_exp_f32_e32 v43, v43                                     // 000000009A70: 7E56412B
	v_exp_f32_e32 v44, v44                                     // 000000009A74: 7E58412C
	v_exp_f32_e32 v45, v45                                     // 000000009A78: 7E5A412D
	v_exp_f32_e32 v46, v46                                     // 000000009A7C: 7E5C412E
	v_exp_f32_e32 v47, v47                                     // 000000009A80: 7E5E412F
	v_exp_f32_e32 v48, v48                                     // 000000009A84: 7E604130
	v_exp_f32_e32 v49, v49                                     // 000000009A88: 7E624131
	v_mul_f32_e32 v4, v16, v4                                  // 000000009A8C: 0A080910
	v_mov_b32_e32 v28, v42                                     // 000000009A90: 7E38032A
	v_add_f32_e32 v28, v43, v28                                // 000000009A94: 0238392B
	v_add_f32_e32 v28, v44, v28                                // 000000009A98: 0238392C
	v_add_f32_e32 v28, v45, v28                                // 000000009A9C: 0238392D
	v_add_f32_e32 v28, v46, v28                                // 000000009AA0: 0238392E
	v_add_f32_e32 v28, v47, v28                                // 000000009AA4: 0238392F
	v_add_f32_e32 v28, v48, v28                                // 000000009AA8: 02383930
	v_add_f32_e32 v28, v49, v28                                // 000000009AAC: 02383931
	v_add_f32_e32 v4, v28, v4                                  // 000000009AB0: 0208091C
	v_cvt_pk_bf16_f32 v42, v42, v43                            // 000000009AB4: D268002A 0002572A
	v_cvt_pk_bf16_f32 v43, v44, v45                            // 000000009ABC: D268002B 00025B2C
	v_cvt_pk_bf16_f32 v44, v46, v47                            // 000000009AC4: D268002C 00025F2E
	v_cvt_pk_bf16_f32 v45, v48, v49                            // 000000009ACC: D268002D 00026330
	s_nop 0                                                    // 000000009AD4: BF800000
	v_permlane32_swap_b32_e32 v42, v44                         // 000000009AD8: 7E54B52C
	v_permlane32_swap_b32_e32 v43, v45                         // 000000009ADC: 7E56B52D
	s_nop 0                                                    // 000000009AE0: BF800000
	v_permlane16_swap_b32_e32 v42, v44                         // 000000009AE4: 7E54B32C
	v_permlane16_swap_b32_e32 v43, v45                         // 000000009AE8: 7E56B32D
	s_waitcnt lgkmcnt(4)                                       // 000000009AEC: BF8CC47F
	v_mfma_f32_16x16x32_bf16 v[50:53], a[144:147], v[34:37], v[50:53]// 000000009AF0: D3B50032 0CCA4590
	v_mfma_f32_16x16x32_bf16 v[54:57], a[148:151], v[34:37], v[54:57]// 000000009AF8: D3B50036 0CDA4594
	v_mfma_f32_16x16x32_bf16 v[58:61], a[152:155], v[34:37], v[58:61]// 000000009B00: D3B5003A 0CEA4598
	v_mfma_f32_16x16x32_bf16 v[62:65], a[156:159], v[34:37], v[62:65]// 000000009B08: D3B5003E 0CFA459C
	v_mfma_f32_16x16x32_bf16 v[66:69], a[160:163], v[34:37], v[66:69]// 000000009B10: D3B50042 0D0A45A0
	v_mfma_f32_16x16x32_bf16 v[70:73], a[164:167], v[34:37], v[70:73]// 000000009B18: D3B50046 0D1A45A4
	v_mfma_f32_16x16x32_bf16 v[74:77], a[168:171], v[34:37], v[74:77]// 000000009B20: D3B5004A 0D2A45A8
	v_mfma_f32_16x16x32_bf16 v[78:81], a[172:175], v[34:37], v[78:81]// 000000009B28: D3B5004E 0D3A45AC
	v_mfma_f32_16x16x32_bf16 v[82:85], a[176:179], v[34:37], v[82:85]// 000000009B30: D3B50052 0D4A45B0
	v_mfma_f32_16x16x32_bf16 v[86:89], a[180:183], v[34:37], v[86:89]// 000000009B38: D3B50056 0D5A45B4
	v_mfma_f32_16x16x32_bf16 v[90:93], a[184:187], v[34:37], v[90:93]// 000000009B40: D3B5005A 0D6A45B8
	v_mfma_f32_16x16x32_bf16 v[94:97], a[188:191], v[34:37], v[94:97]// 000000009B48: D3B5005E 0D7A45BC
	v_mfma_f32_16x16x32_bf16 v[98:101], a[192:195], v[34:37], v[98:101]// 000000009B50: D3B50062 0D8A45C0
	v_mfma_f32_16x16x32_bf16 v[102:105], a[196:199], v[34:37], v[102:105]// 000000009B58: D3B50066 0D9A45C4
	v_mfma_f32_16x16x32_bf16 v[106:109], a[200:203], v[34:37], v[106:109]// 000000009B60: D3B5006A 0DAA45C8
	v_mfma_f32_16x16x32_bf16 v[110:113], a[204:207], v[34:37], v[110:113]// 000000009B68: D3B5006E 0DBA45CC
	ds_read_b64_tr_b16 a[144:145], v8 offset:8192              // 000000009B70: DBC62000 90000008
	ds_read_b64_tr_b16 a[146:147], v8 offset:8448              // 000000009B78: DBC62100 92000008
	ds_read_b64_tr_b16 a[148:149], v9 offset:8192              // 000000009B80: DBC62000 94000009
	ds_read_b64_tr_b16 a[150:151], v9 offset:8448              // 000000009B88: DBC62100 96000009
	ds_read_b64_tr_b16 a[152:153], v8 offset:9216              // 000000009B90: DBC62400 98000008
	ds_read_b64_tr_b16 a[154:155], v8 offset:9472              // 000000009B98: DBC62500 9A000008
	ds_read_b64_tr_b16 a[156:157], v9 offset:9216              // 000000009BA0: DBC62400 9C000009
	ds_read_b64_tr_b16 a[158:159], v9 offset:9472              // 000000009BA8: DBC62500 9E000009
	ds_read_b64_tr_b16 a[160:161], v8 offset:10240             // 000000009BB0: DBC62800 A0000008
	ds_read_b64_tr_b16 a[162:163], v8 offset:10496             // 000000009BB8: DBC62900 A2000008
	ds_read_b64_tr_b16 a[164:165], v9 offset:10240             // 000000009BC0: DBC62800 A4000009
	ds_read_b64_tr_b16 a[166:167], v9 offset:10496             // 000000009BC8: DBC62900 A6000009
	ds_read_b64_tr_b16 a[168:169], v8 offset:11264             // 000000009BD0: DBC62C00 A8000008
	ds_read_b64_tr_b16 a[170:171], v8 offset:11520             // 000000009BD8: DBC62D00 AA000008
	ds_read_b64_tr_b16 a[172:173], v9 offset:11264             // 000000009BE0: DBC62C00 AC000009
	ds_read_b64_tr_b16 a[174:175], v9 offset:11520             // 000000009BE8: DBC62D00 AE000009
	ds_read_b64_tr_b16 a[176:177], v8 offset:12288             // 000000009BF0: DBC63000 B0000008
	ds_read_b64_tr_b16 a[178:179], v8 offset:12544             // 000000009BF8: DBC63100 B2000008
	ds_read_b64_tr_b16 a[180:181], v9 offset:12288             // 000000009C00: DBC63000 B4000009
	ds_read_b64_tr_b16 a[182:183], v9 offset:12544             // 000000009C08: DBC63100 B6000009
	ds_read_b64_tr_b16 a[184:185], v8 offset:13312             // 000000009C10: DBC63400 B8000008
	ds_read_b64_tr_b16 a[186:187], v8 offset:13568             // 000000009C18: DBC63500 BA000008
	ds_read_b64_tr_b16 a[188:189], v9 offset:13312             // 000000009C20: DBC63400 BC000009
	ds_read_b64_tr_b16 a[190:191], v9 offset:13568             // 000000009C28: DBC63500 BE000009
	ds_read_b64_tr_b16 a[192:193], v8 offset:14336             // 000000009C30: DBC63800 C0000008
	ds_read_b64_tr_b16 a[194:195], v8 offset:14592             // 000000009C38: DBC63900 C2000008
	ds_read_b64_tr_b16 a[196:197], v9 offset:14336             // 000000009C40: DBC63800 C4000009
	ds_read_b64_tr_b16 a[198:199], v9 offset:14592             // 000000009C48: DBC63900 C6000009
	ds_read_b64_tr_b16 a[200:201], v8 offset:15360             // 000000009C50: DBC63C00 C8000008
	ds_read_b64_tr_b16 a[202:203], v8 offset:15616             // 000000009C58: DBC63D00 CA000008
	ds_read_b64_tr_b16 a[204:205], v9 offset:15360             // 000000009C60: DBC63C00 CC000009
	ds_read_b64_tr_b16 a[206:207], v9 offset:15616             // 000000009C68: DBC63D00 CE000009
	s_waitcnt lgkmcnt(0)                                       // 000000009C70: BF8CC07F
	v_mfma_f32_16x16x32_bf16 v[114:117], a[144:147], v[34:37], v[114:117]// 000000009C74: D3B50072 0DCA4590
	v_mfma_f32_16x16x32_bf16 v[118:121], a[148:151], v[34:37], v[118:121]// 000000009C7C: D3B50076 0DDA4594
	v_mfma_f32_16x16x32_bf16 v[122:125], a[152:155], v[34:37], v[122:125]// 000000009C84: D3B5007A 0DEA4598
	v_mfma_f32_16x16x32_bf16 v[126:129], a[156:159], v[34:37], v[126:129]// 000000009C8C: D3B5007E 0DFA459C
	v_mfma_f32_16x16x32_bf16 v[130:133], a[160:163], v[34:37], v[130:133]// 000000009C94: D3B50082 0E0A45A0
	v_mfma_f32_16x16x32_bf16 v[134:137], a[164:167], v[34:37], v[134:137]// 000000009C9C: D3B50086 0E1A45A4
	v_mfma_f32_16x16x32_bf16 v[138:141], a[168:171], v[34:37], v[138:141]// 000000009CA4: D3B5008A 0E2A45A8
	v_mfma_f32_16x16x32_bf16 v[142:145], a[172:175], v[34:37], v[142:145]// 000000009CAC: D3B5008E 0E3A45AC
	v_mfma_f32_16x16x32_bf16 v[146:149], a[176:179], v[34:37], v[146:149]// 000000009CB4: D3B50092 0E4A45B0
	v_mfma_f32_16x16x32_bf16 v[150:153], a[180:183], v[34:37], v[150:153]// 000000009CBC: D3B50096 0E5A45B4
	v_mfma_f32_16x16x32_bf16 v[154:157], a[184:187], v[34:37], v[154:157]// 000000009CC4: D3B5009A 0E6A45B8
	v_mfma_f32_16x16x32_bf16 v[158:161], a[188:191], v[34:37], v[158:161]// 000000009CCC: D3B5009E 0E7A45BC
	v_mfma_f32_16x16x32_bf16 v[162:165], a[192:195], v[34:37], v[162:165]// 000000009CD4: D3B500A2 0E8A45C0
	v_mfma_f32_16x16x32_bf16 v[166:169], a[196:199], v[34:37], v[166:169]// 000000009CDC: D3B500A6 0E9A45C4
	v_mfma_f32_16x16x32_bf16 v[170:173], a[200:203], v[34:37], v[170:173]// 000000009CE4: D3B500AA 0EAA45C8
	v_mfma_f32_16x16x32_bf16 v[174:177], a[204:207], v[34:37], v[174:177]// 000000009CEC: D3B500AE 0EBA45CC
	ds_read_b64_tr_b16 a[144:145], v10                         // 000000009CF4: DBC60000 9000000A
	ds_read_b64_tr_b16 a[146:147], v10 offset:256              // 000000009CFC: DBC60100 9200000A
	ds_read_b64_tr_b16 a[148:149], v11                         // 000000009D04: DBC60000 9400000B
	ds_read_b64_tr_b16 a[150:151], v11 offset:256              // 000000009D0C: DBC60100 9600000B
	ds_read_b64_tr_b16 a[152:153], v10 offset:1024             // 000000009D14: DBC60400 9800000A
	ds_read_b64_tr_b16 a[154:155], v10 offset:1280             // 000000009D1C: DBC60500 9A00000A
	ds_read_b64_tr_b16 a[156:157], v11 offset:1024             // 000000009D24: DBC60400 9C00000B
	ds_read_b64_tr_b16 a[158:159], v11 offset:1280             // 000000009D2C: DBC60500 9E00000B
	ds_read_b64_tr_b16 a[160:161], v10 offset:2048             // 000000009D34: DBC60800 A000000A
	ds_read_b64_tr_b16 a[162:163], v10 offset:2304             // 000000009D3C: DBC60900 A200000A
	ds_read_b64_tr_b16 a[164:165], v11 offset:2048             // 000000009D44: DBC60800 A400000B
	ds_read_b64_tr_b16 a[166:167], v11 offset:2304             // 000000009D4C: DBC60900 A600000B
	ds_read_b64_tr_b16 a[168:169], v10 offset:3072             // 000000009D54: DBC60C00 A800000A
	ds_read_b64_tr_b16 a[170:171], v10 offset:3328             // 000000009D5C: DBC60D00 AA00000A
	ds_read_b64_tr_b16 a[172:173], v11 offset:3072             // 000000009D64: DBC60C00 AC00000B
	ds_read_b64_tr_b16 a[174:175], v11 offset:3328             // 000000009D6C: DBC60D00 AE00000B
	ds_read_b64_tr_b16 a[176:177], v10 offset:4096             // 000000009D74: DBC61000 B000000A
	ds_read_b64_tr_b16 a[178:179], v10 offset:4352             // 000000009D7C: DBC61100 B200000A
	ds_read_b64_tr_b16 a[180:181], v11 offset:4096             // 000000009D84: DBC61000 B400000B
	ds_read_b64_tr_b16 a[182:183], v11 offset:4352             // 000000009D8C: DBC61100 B600000B
	ds_read_b64_tr_b16 a[184:185], v10 offset:5120             // 000000009D94: DBC61400 B800000A
	ds_read_b64_tr_b16 a[186:187], v10 offset:5376             // 000000009D9C: DBC61500 BA00000A
	ds_read_b64_tr_b16 a[188:189], v11 offset:5120             // 000000009DA4: DBC61400 BC00000B
	ds_read_b64_tr_b16 a[190:191], v11 offset:5376             // 000000009DAC: DBC61500 BE00000B
	ds_read_b64_tr_b16 a[192:193], v10 offset:6144             // 000000009DB4: DBC61800 C000000A
	ds_read_b64_tr_b16 a[194:195], v10 offset:6400             // 000000009DBC: DBC61900 C200000A
	ds_read_b64_tr_b16 a[196:197], v11 offset:6144             // 000000009DC4: DBC61800 C400000B
	ds_read_b64_tr_b16 a[198:199], v11 offset:6400             // 000000009DCC: DBC61900 C600000B
	ds_read_b64_tr_b16 a[200:201], v10 offset:7168             // 000000009DD4: DBC61C00 C800000A
	ds_read_b64_tr_b16 a[202:203], v10 offset:7424             // 000000009DDC: DBC61D00 CA00000A
	ds_read_b64_tr_b16 a[204:205], v11 offset:7168             // 000000009DE4: DBC61C00 CC00000B
	ds_read_b64_tr_b16 a[206:207], v11 offset:7424             // 000000009DEC: DBC61D00 CE00000B
	v_mov_b32_e32 v30, v16                                     // 000000009DF4: 7E3C0310
	v_mov_b32_e32 v31, v16                                     // 000000009DF8: 7E3E0310
	v_pk_mul_f32 v[50:51], v[30:31], v[50:51]                  // 000000009DFC: D3B14032 1802651E
	v_pk_mul_f32 v[52:53], v[30:31], v[52:53]                  // 000000009E04: D3B14034 1802691E
	v_pk_mul_f32 v[54:55], v[30:31], v[54:55]                  // 000000009E0C: D3B14036 18026D1E
	v_pk_mul_f32 v[56:57], v[30:31], v[56:57]                  // 000000009E14: D3B14038 1802711E
	v_pk_mul_f32 v[58:59], v[30:31], v[58:59]                  // 000000009E1C: D3B1403A 1802751E
	v_pk_mul_f32 v[60:61], v[30:31], v[60:61]                  // 000000009E24: D3B1403C 1802791E
	v_pk_mul_f32 v[62:63], v[30:31], v[62:63]                  // 000000009E2C: D3B1403E 18027D1E
	v_pk_mul_f32 v[64:65], v[30:31], v[64:65]                  // 000000009E34: D3B14040 1802811E
	v_pk_mul_f32 v[66:67], v[30:31], v[66:67]                  // 000000009E3C: D3B14042 1802851E
	v_pk_mul_f32 v[68:69], v[30:31], v[68:69]                  // 000000009E44: D3B14044 1802891E
	v_pk_mul_f32 v[70:71], v[30:31], v[70:71]                  // 000000009E4C: D3B14046 18028D1E
	v_pk_mul_f32 v[72:73], v[30:31], v[72:73]                  // 000000009E54: D3B14048 1802911E
	v_pk_mul_f32 v[74:75], v[30:31], v[74:75]                  // 000000009E5C: D3B1404A 1802951E
	v_pk_mul_f32 v[76:77], v[30:31], v[76:77]                  // 000000009E64: D3B1404C 1802991E
	v_pk_mul_f32 v[78:79], v[30:31], v[78:79]                  // 000000009E6C: D3B1404E 18029D1E
	v_pk_mul_f32 v[80:81], v[30:31], v[80:81]                  // 000000009E74: D3B14050 1802A11E
	v_pk_mul_f32 v[82:83], v[30:31], v[82:83]                  // 000000009E7C: D3B14052 1802A51E
	v_pk_mul_f32 v[84:85], v[30:31], v[84:85]                  // 000000009E84: D3B14054 1802A91E
	v_pk_mul_f32 v[86:87], v[30:31], v[86:87]                  // 000000009E8C: D3B14056 1802AD1E
	v_pk_mul_f32 v[88:89], v[30:31], v[88:89]                  // 000000009E94: D3B14058 1802B11E
	v_pk_mul_f32 v[90:91], v[30:31], v[90:91]                  // 000000009E9C: D3B1405A 1802B51E
	v_pk_mul_f32 v[92:93], v[30:31], v[92:93]                  // 000000009EA4: D3B1405C 1802B91E
	v_pk_mul_f32 v[94:95], v[30:31], v[94:95]                  // 000000009EAC: D3B1405E 1802BD1E
	v_pk_mul_f32 v[96:97], v[30:31], v[96:97]                  // 000000009EB4: D3B14060 1802C11E
	v_pk_mul_f32 v[98:99], v[30:31], v[98:99]                  // 000000009EBC: D3B14062 1802C51E
	v_pk_mul_f32 v[100:101], v[30:31], v[100:101]              // 000000009EC4: D3B14064 1802C91E
	v_pk_mul_f32 v[102:103], v[30:31], v[102:103]              // 000000009ECC: D3B14066 1802CD1E
	v_pk_mul_f32 v[104:105], v[30:31], v[104:105]              // 000000009ED4: D3B14068 1802D11E
	v_pk_mul_f32 v[106:107], v[30:31], v[106:107]              // 000000009EDC: D3B1406A 1802D51E
	v_pk_mul_f32 v[108:109], v[30:31], v[108:109]              // 000000009EE4: D3B1406C 1802D91E
	v_pk_mul_f32 v[110:111], v[30:31], v[110:111]              // 000000009EEC: D3B1406E 1802DD1E
	v_pk_mul_f32 v[112:113], v[30:31], v[112:113]              // 000000009EF4: D3B14070 1802E11E
	v_pk_mul_f32 v[114:115], v[30:31], v[114:115]              // 000000009EFC: D3B14072 1802E51E
	v_pk_mul_f32 v[116:117], v[30:31], v[116:117]              // 000000009F04: D3B14074 1802E91E
	v_pk_mul_f32 v[118:119], v[30:31], v[118:119]              // 000000009F0C: D3B14076 1802ED1E
	v_pk_mul_f32 v[120:121], v[30:31], v[120:121]              // 000000009F14: D3B14078 1802F11E
	v_pk_mul_f32 v[122:123], v[30:31], v[122:123]              // 000000009F1C: D3B1407A 1802F51E
	v_pk_mul_f32 v[124:125], v[30:31], v[124:125]              // 000000009F24: D3B1407C 1802F91E
	v_pk_mul_f32 v[126:127], v[30:31], v[126:127]              // 000000009F2C: D3B1407E 1802FD1E
	v_pk_mul_f32 v[128:129], v[30:31], v[128:129]              // 000000009F34: D3B14080 1803011E
	v_pk_mul_f32 v[130:131], v[30:31], v[130:131]              // 000000009F3C: D3B14082 1803051E
	v_pk_mul_f32 v[132:133], v[30:31], v[132:133]              // 000000009F44: D3B14084 1803091E
	v_pk_mul_f32 v[134:135], v[30:31], v[134:135]              // 000000009F4C: D3B14086 18030D1E
	v_pk_mul_f32 v[136:137], v[30:31], v[136:137]              // 000000009F54: D3B14088 1803111E
	v_pk_mul_f32 v[138:139], v[30:31], v[138:139]              // 000000009F5C: D3B1408A 1803151E
	v_pk_mul_f32 v[140:141], v[30:31], v[140:141]              // 000000009F64: D3B1408C 1803191E
	v_pk_mul_f32 v[142:143], v[30:31], v[142:143]              // 000000009F6C: D3B1408E 18031D1E
	v_pk_mul_f32 v[144:145], v[30:31], v[144:145]              // 000000009F74: D3B14090 1803211E
	v_pk_mul_f32 v[146:147], v[30:31], v[146:147]              // 000000009F7C: D3B14092 1803251E
	v_pk_mul_f32 v[148:149], v[30:31], v[148:149]              // 000000009F84: D3B14094 1803291E
	v_pk_mul_f32 v[150:151], v[30:31], v[150:151]              // 000000009F8C: D3B14096 18032D1E
	v_pk_mul_f32 v[152:153], v[30:31], v[152:153]              // 000000009F94: D3B14098 1803311E
	v_pk_mul_f32 v[154:155], v[30:31], v[154:155]              // 000000009F9C: D3B1409A 1803351E
	v_pk_mul_f32 v[156:157], v[30:31], v[156:157]              // 000000009FA4: D3B1409C 1803391E
	v_pk_mul_f32 v[158:159], v[30:31], v[158:159]              // 000000009FAC: D3B1409E 18033D1E
	v_pk_mul_f32 v[160:161], v[30:31], v[160:161]              // 000000009FB4: D3B140A0 1803411E
	v_pk_mul_f32 v[162:163], v[30:31], v[162:163]              // 000000009FBC: D3B140A2 1803451E
	v_pk_mul_f32 v[164:165], v[30:31], v[164:165]              // 000000009FC4: D3B140A4 1803491E
	v_pk_mul_f32 v[166:167], v[30:31], v[166:167]              // 000000009FCC: D3B140A6 18034D1E
	v_pk_mul_f32 v[168:169], v[30:31], v[168:169]              // 000000009FD4: D3B140A8 1803511E
	v_pk_mul_f32 v[170:171], v[30:31], v[170:171]              // 000000009FDC: D3B140AA 1803551E
	v_pk_mul_f32 v[172:173], v[30:31], v[172:173]              // 000000009FE4: D3B140AC 1803591E
	v_pk_mul_f32 v[174:175], v[30:31], v[174:175]              // 000000009FEC: D3B140AE 18035D1E
	v_pk_mul_f32 v[176:177], v[30:31], v[176:177]              // 000000009FF4: D3B140B0 1803611E
	s_waitcnt lgkmcnt(4)                                       // 000000009FFC: BF8CC47F
	v_mfma_f32_16x16x32_bf16 v[50:53], a[144:147], v[42:45], v[50:53]// 00000000A000: D3B50032 0CCA5590
	v_mfma_f32_16x16x32_bf16 v[54:57], a[148:151], v[42:45], v[54:57]// 00000000A008: D3B50036 0CDA5594
	v_mfma_f32_16x16x32_bf16 v[58:61], a[152:155], v[42:45], v[58:61]// 00000000A010: D3B5003A 0CEA5598
	v_mfma_f32_16x16x32_bf16 v[62:65], a[156:159], v[42:45], v[62:65]// 00000000A018: D3B5003E 0CFA559C
	v_mfma_f32_16x16x32_bf16 v[66:69], a[160:163], v[42:45], v[66:69]// 00000000A020: D3B50042 0D0A55A0
	v_mfma_f32_16x16x32_bf16 v[70:73], a[164:167], v[42:45], v[70:73]// 00000000A028: D3B50046 0D1A55A4
	v_mfma_f32_16x16x32_bf16 v[74:77], a[168:171], v[42:45], v[74:77]// 00000000A030: D3B5004A 0D2A55A8
	v_mfma_f32_16x16x32_bf16 v[78:81], a[172:175], v[42:45], v[78:81]// 00000000A038: D3B5004E 0D3A55AC
	v_mfma_f32_16x16x32_bf16 v[82:85], a[176:179], v[42:45], v[82:85]// 00000000A040: D3B50052 0D4A55B0
	v_mfma_f32_16x16x32_bf16 v[86:89], a[180:183], v[42:45], v[86:89]// 00000000A048: D3B50056 0D5A55B4
	v_mfma_f32_16x16x32_bf16 v[90:93], a[184:187], v[42:45], v[90:93]// 00000000A050: D3B5005A 0D6A55B8
	v_mfma_f32_16x16x32_bf16 v[94:97], a[188:191], v[42:45], v[94:97]// 00000000A058: D3B5005E 0D7A55BC
	v_mfma_f32_16x16x32_bf16 v[98:101], a[192:195], v[42:45], v[98:101]// 00000000A060: D3B50062 0D8A55C0
	v_mfma_f32_16x16x32_bf16 v[102:105], a[196:199], v[42:45], v[102:105]// 00000000A068: D3B50066 0D9A55C4
	v_mfma_f32_16x16x32_bf16 v[106:109], a[200:203], v[42:45], v[106:109]// 00000000A070: D3B5006A 0DAA55C8
	v_mfma_f32_16x16x32_bf16 v[110:113], a[204:207], v[42:45], v[110:113]// 00000000A078: D3B5006E 0DBA55CC
	ds_read_b64_tr_b16 a[144:145], v10 offset:8192             // 00000000A080: DBC62000 9000000A
	ds_read_b64_tr_b16 a[146:147], v10 offset:8448             // 00000000A088: DBC62100 9200000A
	ds_read_b64_tr_b16 a[148:149], v11 offset:8192             // 00000000A090: DBC62000 9400000B
	ds_read_b64_tr_b16 a[150:151], v11 offset:8448             // 00000000A098: DBC62100 9600000B
	ds_read_b64_tr_b16 a[152:153], v10 offset:9216             // 00000000A0A0: DBC62400 9800000A
	ds_read_b64_tr_b16 a[154:155], v10 offset:9472             // 00000000A0A8: DBC62500 9A00000A
	ds_read_b64_tr_b16 a[156:157], v11 offset:9216             // 00000000A0B0: DBC62400 9C00000B
	ds_read_b64_tr_b16 a[158:159], v11 offset:9472             // 00000000A0B8: DBC62500 9E00000B
	ds_read_b64_tr_b16 a[160:161], v10 offset:10240            // 00000000A0C0: DBC62800 A000000A
	ds_read_b64_tr_b16 a[162:163], v10 offset:10496            // 00000000A0C8: DBC62900 A200000A
	ds_read_b64_tr_b16 a[164:165], v11 offset:10240            // 00000000A0D0: DBC62800 A400000B
	ds_read_b64_tr_b16 a[166:167], v11 offset:10496            // 00000000A0D8: DBC62900 A600000B
	ds_read_b64_tr_b16 a[168:169], v10 offset:11264            // 00000000A0E0: DBC62C00 A800000A
	ds_read_b64_tr_b16 a[170:171], v10 offset:11520            // 00000000A0E8: DBC62D00 AA00000A
	ds_read_b64_tr_b16 a[172:173], v11 offset:11264            // 00000000A0F0: DBC62C00 AC00000B
	ds_read_b64_tr_b16 a[174:175], v11 offset:11520            // 00000000A0F8: DBC62D00 AE00000B
	ds_read_b64_tr_b16 a[176:177], v10 offset:12288            // 00000000A100: DBC63000 B000000A
	ds_read_b64_tr_b16 a[178:179], v10 offset:12544            // 00000000A108: DBC63100 B200000A
	ds_read_b64_tr_b16 a[180:181], v11 offset:12288            // 00000000A110: DBC63000 B400000B
	ds_read_b64_tr_b16 a[182:183], v11 offset:12544            // 00000000A118: DBC63100 B600000B
	ds_read_b64_tr_b16 a[184:185], v10 offset:13312            // 00000000A120: DBC63400 B800000A
	ds_read_b64_tr_b16 a[186:187], v10 offset:13568            // 00000000A128: DBC63500 BA00000A
	ds_read_b64_tr_b16 a[188:189], v11 offset:13312            // 00000000A130: DBC63400 BC00000B
	ds_read_b64_tr_b16 a[190:191], v11 offset:13568            // 00000000A138: DBC63500 BE00000B
	ds_read_b64_tr_b16 a[192:193], v10 offset:14336            // 00000000A140: DBC63800 C000000A
	ds_read_b64_tr_b16 a[194:195], v10 offset:14592            // 00000000A148: DBC63900 C200000A
	ds_read_b64_tr_b16 a[196:197], v11 offset:14336            // 00000000A150: DBC63800 C400000B
	ds_read_b64_tr_b16 a[198:199], v11 offset:14592            // 00000000A158: DBC63900 C600000B
	ds_read_b64_tr_b16 a[200:201], v10 offset:15360            // 00000000A160: DBC63C00 C800000A
	ds_read_b64_tr_b16 a[202:203], v10 offset:15616            // 00000000A168: DBC63D00 CA00000A
	ds_read_b64_tr_b16 a[204:205], v11 offset:15360            // 00000000A170: DBC63C00 CC00000B
	ds_read_b64_tr_b16 a[206:207], v11 offset:15616            // 00000000A178: DBC63D00 CE00000B
	s_waitcnt vmcnt(0)                                         // 00000000A180: BF8C0F70
	s_barrier                                                  // 00000000A184: BF8A0000
	s_waitcnt lgkmcnt(0)                                       // 00000000A188: BF8CC07F
	v_mfma_f32_16x16x32_bf16 v[114:117], a[144:147], v[42:45], v[114:117]// 00000000A18C: D3B50072 0DCA5590
	ds_read_b128 a[72:75], v20                                 // 00000000A194: DBFE0000 48000014
	ds_read_b128 a[76:79], v20 offset:1024                     // 00000000A19C: DBFE0400 4C000014
	v_mfma_f32_16x16x32_bf16 v[118:121], a[148:151], v[42:45], v[118:121]// 00000000A1A4: D3B50076 0DDA5594
	ds_read_b128 a[80:83], v20 offset:2048                     // 00000000A1AC: DBFE0800 50000014
	ds_read_b128 a[84:87], v20 offset:3072                     // 00000000A1B4: DBFE0C00 54000014
	v_mfma_f32_16x16x32_bf16 v[122:125], a[152:155], v[42:45], v[122:125]// 00000000A1BC: D3B5007A 0DEA5598
	ds_read_b128 a[88:91], v20 offset:4096                     // 00000000A1C4: DBFE1000 58000014
	ds_read_b128 a[92:95], v20 offset:5120                     // 00000000A1CC: DBFE1400 5C000014
	v_mfma_f32_16x16x32_bf16 v[126:129], a[156:159], v[42:45], v[126:129]// 00000000A1D4: D3B5007E 0DFA559C
	ds_read_b128 a[96:99], v20 offset:6144                     // 00000000A1DC: DBFE1800 60000014
	ds_read_b128 a[100:103], v20 offset:7168                   // 00000000A1E4: DBFE1C00 64000014
	v_mfma_f32_16x16x32_bf16 v[130:133], a[160:163], v[42:45], v[130:133]// 00000000A1EC: D3B50082 0E0A55A0
	ds_read_b128 a[104:107], v20 offset:8192                   // 00000000A1F4: DBFE2000 68000014
	ds_read_b128 a[108:111], v20 offset:9216                   // 00000000A1FC: DBFE2400 6C000014
	v_mfma_f32_16x16x32_bf16 v[134:137], a[164:167], v[42:45], v[134:137]// 00000000A204: D3B50086 0E1A55A4
	ds_read_b128 a[112:115], v20 offset:10240                  // 00000000A20C: DBFE2800 70000014
	ds_read_b128 a[116:119], v20 offset:11264                  // 00000000A214: DBFE2C00 74000014
	v_mfma_f32_16x16x32_bf16 v[138:141], a[168:171], v[42:45], v[138:141]// 00000000A21C: D3B5008A 0E2A55A8
	ds_read_b128 a[120:123], v20 offset:12288                  // 00000000A224: DBFE3000 78000014
	ds_read_b128 a[124:127], v20 offset:13312                  // 00000000A22C: DBFE3400 7C000014
	v_mfma_f32_16x16x32_bf16 v[142:145], a[172:175], v[42:45], v[142:145]// 00000000A234: D3B5008E 0E3A55AC
	ds_read_b128 a[128:131], v20 offset:14336                  // 00000000A23C: DBFE3800 80000014
	ds_read_b128 a[132:135], v20 offset:15360                  // 00000000A244: DBFE3C00 84000014
	v_mfma_f32_16x16x32_bf16 v[146:149], a[176:179], v[42:45], v[146:149]// 00000000A24C: D3B50092 0E4A55B0
	ds_read_b128 a[136:139], v20 offset:16384                  // 00000000A254: DBFE4000 88000014
	ds_read_b128 a[140:143], v20 offset:17408                  // 00000000A25C: DBFE4400 8C000014
	v_mfma_f32_16x16x32_bf16 v[150:153], a[180:183], v[42:45], v[150:153]// 00000000A264: D3B50096 0E5A55B4
	v_mfma_f32_16x16x32_bf16 v[154:157], a[184:187], v[42:45], v[154:157]// 00000000A26C: D3B5009A 0E6A55B8
	v_mfma_f32_16x16x32_bf16 v[158:161], a[188:191], v[42:45], v[158:161]// 00000000A274: D3B5009E 0E7A55BC
	v_mfma_f32_16x16x32_bf16 v[162:165], a[192:195], v[42:45], v[162:165]// 00000000A27C: D3B500A2 0E8A55C0
	v_mfma_f32_16x16x32_bf16 v[166:169], a[196:199], v[42:45], v[166:169]// 00000000A284: D3B500A6 0E9A55C4
	v_mfma_f32_16x16x32_bf16 v[170:173], a[200:203], v[42:45], v[170:173]// 00000000A28C: D3B500AA 0EAA55C8
	v_mfma_f32_16x16x32_bf16 v[174:177], a[204:207], v[42:45], v[174:177]// 00000000A294: D3B500AE 0EBA55CC
	s_branch label_86A0                                        // 00000000A29C: BF820240

000000000000a2a0 <label_7DA0>:
	s_nop 2                                                    // 00000000A2A0: BF800002
	v_mov_b32_e32 v29, v34                                     // 00000000A2A4: 7E3A0322
	v_max3_f32 v29, v34, v35, v29                              // 00000000A2A8: D1D3001D 04764722
	v_max3_f32 v29, v36, v37, v29                              // 00000000A2B0: D1D3001D 04764B24
	v_max3_f32 v29, v38, v39, v29                              // 00000000A2B8: D1D3001D 04764F26
	v_max3_f32 v29, v40, v41, v29                              // 00000000A2C0: D1D3001D 04765328
	v_mov_b32_e32 v28, v29                                     // 00000000A2C8: 7E38031D
	v_mov_b32_e32 v29, v29                                     // 00000000A2CC: 7E3A031D
	s_nop 1                                                    // 00000000A2D0: BF800001
	v_permlane16_swap_b32_e32 v28, v29                         // 00000000A2D4: 7E38B31D
	v_mov_b32_e32 v31, v28                                     // 00000000A2D8: 7E3E031C
	v_mov_b32_e32 v30, v29                                     // 00000000A2DC: 7E3C031D
	s_nop 1                                                    // 00000000A2E0: BF800001
	v_permlane32_swap_b32_e32 v28, v29                         // 00000000A2E4: 7E38B51D
	v_permlane32_swap_b32_e32 v30, v31                         // 00000000A2E8: 7E3CB51F
	v_max3_f32 v29, v28, v29, v29                              // 00000000A2EC: D1D3001D 04763B1C
	v_max3_f32 v29, v30, v31, v29                              // 00000000A2F4: D1D3001D 04763F1E
	v_mov_b32_e32 v28, 0xff800000                              // 00000000A2FC: 7E3802FF FF800000
	v_cmp_eq_u32_e64 s[36:37], v28, v2                         // 00000000A304: D0CA0024 0002051C
	v_max_f32_e32 v29, v29, v2                                 // 00000000A30C: 163A051D
	v_sub_f32_e32 v16, v2, v29                                 // 00000000A310: 04203B02
	v_cndmask_b32_e64 v16, v16, 0, s[36:37]                    // 00000000A314: D1000010 00910110
	v_mov_b32_e32 v2, v29                                      // 00000000A31C: 7E04031D
	v_mul_f32_e32 v29, s5, v29                                 // 00000000A320: 0A3A3A05
	v_mul_f32_e32 v16, s5, v16                                 // 00000000A324: 0A202005
	v_exp_f32_e32 v16, v16                                     // 00000000A328: 7E204110
	v_fma_f32 v34, v34, s5, -v29                               // 00000000A32C: D1CB0022 84740B22
	v_fma_f32 v35, v35, s5, -v29                               // 00000000A334: D1CB0023 84740B23
	v_fma_f32 v36, v36, s5, -v29                               // 00000000A33C: D1CB0024 84740B24
	v_fma_f32 v37, v37, s5, -v29                               // 00000000A344: D1CB0025 84740B25
	v_fma_f32 v38, v38, s5, -v29                               // 00000000A34C: D1CB0026 84740B26
	v_fma_f32 v39, v39, s5, -v29                               // 00000000A354: D1CB0027 84740B27
	v_fma_f32 v40, v40, s5, -v29                               // 00000000A35C: D1CB0028 84740B28
	v_fma_f32 v41, v41, s5, -v29                               // 00000000A364: D1CB0029 84740B29
	v_exp_f32_e32 v34, v34                                     // 00000000A36C: 7E444122
	v_exp_f32_e32 v35, v35                                     // 00000000A370: 7E464123
	v_exp_f32_e32 v36, v36                                     // 00000000A374: 7E484124
	v_exp_f32_e32 v37, v37                                     // 00000000A378: 7E4A4125
	v_exp_f32_e32 v38, v38                                     // 00000000A37C: 7E4C4126
	v_exp_f32_e32 v39, v39                                     // 00000000A380: 7E4E4127
	v_exp_f32_e32 v40, v40                                     // 00000000A384: 7E504128
	v_exp_f32_e32 v41, v41                                     // 00000000A388: 7E524129
	v_mul_f32_e32 v4, v16, v4                                  // 00000000A38C: 0A080910
	v_mov_b32_e32 v28, v34                                     // 00000000A390: 7E380322
	v_add_f32_e32 v28, v35, v28                                // 00000000A394: 02383923
	v_add_f32_e32 v28, v36, v28                                // 00000000A398: 02383924
	v_add_f32_e32 v28, v37, v28                                // 00000000A39C: 02383925
	v_add_f32_e32 v28, v38, v28                                // 00000000A3A0: 02383926
	v_add_f32_e32 v28, v39, v28                                // 00000000A3A4: 02383927
	v_add_f32_e32 v28, v40, v28                                // 00000000A3A8: 02383928
	v_add_f32_e32 v28, v41, v28                                // 00000000A3AC: 02383929
	v_add_f32_e32 v4, v28, v4                                  // 00000000A3B0: 0208091C
	v_cvt_pk_bf16_f32 v34, v34, v35                            // 00000000A3B4: D2680022 00024722
	v_cvt_pk_bf16_f32 v35, v36, v37                            // 00000000A3BC: D2680023 00024B24
	v_cvt_pk_bf16_f32 v36, v38, v39                            // 00000000A3C4: D2680024 00024F26
	v_cvt_pk_bf16_f32 v37, v40, v41                            // 00000000A3CC: D2680025 00025328
	s_nop 0                                                    // 00000000A3D4: BF800000
	v_permlane32_swap_b32_e32 v34, v36                         // 00000000A3D8: 7E44B524
	v_permlane32_swap_b32_e32 v35, v37                         // 00000000A3DC: 7E46B525
	s_nop 0                                                    // 00000000A3E0: BF800000
	v_permlane16_swap_b32_e32 v34, v36                         // 00000000A3E4: 7E44B324
	v_permlane16_swap_b32_e32 v35, v37                         // 00000000A3E8: 7E46B325
	s_waitcnt lgkmcnt(4)                                       // 00000000A3EC: BF8CC47F
	v_mfma_f32_16x16x32_bf16 v[50:53], a[144:147], v[42:45], v[50:53]// 00000000A3F0: D3B50032 0CCA5590
	v_mfma_f32_16x16x32_bf16 v[54:57], a[148:151], v[42:45], v[54:57]// 00000000A3F8: D3B50036 0CDA5594
	v_mfma_f32_16x16x32_bf16 v[58:61], a[152:155], v[42:45], v[58:61]// 00000000A400: D3B5003A 0CEA5598
	v_mfma_f32_16x16x32_bf16 v[62:65], a[156:159], v[42:45], v[62:65]// 00000000A408: D3B5003E 0CFA559C
	v_mfma_f32_16x16x32_bf16 v[66:69], a[160:163], v[42:45], v[66:69]// 00000000A410: D3B50042 0D0A55A0
	v_mfma_f32_16x16x32_bf16 v[70:73], a[164:167], v[42:45], v[70:73]// 00000000A418: D3B50046 0D1A55A4
	v_mfma_f32_16x16x32_bf16 v[74:77], a[168:171], v[42:45], v[74:77]// 00000000A420: D3B5004A 0D2A55A8
	v_mfma_f32_16x16x32_bf16 v[78:81], a[172:175], v[42:45], v[78:81]// 00000000A428: D3B5004E 0D3A55AC
	v_mfma_f32_16x16x32_bf16 v[82:85], a[176:179], v[42:45], v[82:85]// 00000000A430: D3B50052 0D4A55B0
	v_mfma_f32_16x16x32_bf16 v[86:89], a[180:183], v[42:45], v[86:89]// 00000000A438: D3B50056 0D5A55B4
	v_mfma_f32_16x16x32_bf16 v[90:93], a[184:187], v[42:45], v[90:93]// 00000000A440: D3B5005A 0D6A55B8
	v_mfma_f32_16x16x32_bf16 v[94:97], a[188:191], v[42:45], v[94:97]// 00000000A448: D3B5005E 0D7A55BC
	v_mfma_f32_16x16x32_bf16 v[98:101], a[192:195], v[42:45], v[98:101]// 00000000A450: D3B50062 0D8A55C0
	v_mfma_f32_16x16x32_bf16 v[102:105], a[196:199], v[42:45], v[102:105]// 00000000A458: D3B50066 0D9A55C4
	v_mfma_f32_16x16x32_bf16 v[106:109], a[200:203], v[42:45], v[106:109]// 00000000A460: D3B5006A 0DAA55C8
	v_mfma_f32_16x16x32_bf16 v[110:113], a[204:207], v[42:45], v[110:113]// 00000000A468: D3B5006E 0DBA55CC
	ds_read_b64_tr_b16 a[144:145], v10 offset:8192             // 00000000A470: DBC62000 9000000A
	ds_read_b64_tr_b16 a[146:147], v10 offset:8448             // 00000000A478: DBC62100 9200000A
	ds_read_b64_tr_b16 a[148:149], v11 offset:8192             // 00000000A480: DBC62000 9400000B
	ds_read_b64_tr_b16 a[150:151], v11 offset:8448             // 00000000A488: DBC62100 9600000B
	ds_read_b64_tr_b16 a[152:153], v10 offset:9216             // 00000000A490: DBC62400 9800000A
	ds_read_b64_tr_b16 a[154:155], v10 offset:9472             // 00000000A498: DBC62500 9A00000A
	ds_read_b64_tr_b16 a[156:157], v11 offset:9216             // 00000000A4A0: DBC62400 9C00000B
	ds_read_b64_tr_b16 a[158:159], v11 offset:9472             // 00000000A4A8: DBC62500 9E00000B
	ds_read_b64_tr_b16 a[160:161], v10 offset:10240            // 00000000A4B0: DBC62800 A000000A
	ds_read_b64_tr_b16 a[162:163], v10 offset:10496            // 00000000A4B8: DBC62900 A200000A
	ds_read_b64_tr_b16 a[164:165], v11 offset:10240            // 00000000A4C0: DBC62800 A400000B
	ds_read_b64_tr_b16 a[166:167], v11 offset:10496            // 00000000A4C8: DBC62900 A600000B
	ds_read_b64_tr_b16 a[168:169], v10 offset:11264            // 00000000A4D0: DBC62C00 A800000A
	ds_read_b64_tr_b16 a[170:171], v10 offset:11520            // 00000000A4D8: DBC62D00 AA00000A
	ds_read_b64_tr_b16 a[172:173], v11 offset:11264            // 00000000A4E0: DBC62C00 AC00000B
	ds_read_b64_tr_b16 a[174:175], v11 offset:11520            // 00000000A4E8: DBC62D00 AE00000B
	ds_read_b64_tr_b16 a[176:177], v10 offset:12288            // 00000000A4F0: DBC63000 B000000A
	ds_read_b64_tr_b16 a[178:179], v10 offset:12544            // 00000000A4F8: DBC63100 B200000A
	ds_read_b64_tr_b16 a[180:181], v11 offset:12288            // 00000000A500: DBC63000 B400000B
	ds_read_b64_tr_b16 a[182:183], v11 offset:12544            // 00000000A508: DBC63100 B600000B
	ds_read_b64_tr_b16 a[184:185], v10 offset:13312            // 00000000A510: DBC63400 B800000A
	ds_read_b64_tr_b16 a[186:187], v10 offset:13568            // 00000000A518: DBC63500 BA00000A
	ds_read_b64_tr_b16 a[188:189], v11 offset:13312            // 00000000A520: DBC63400 BC00000B
	ds_read_b64_tr_b16 a[190:191], v11 offset:13568            // 00000000A528: DBC63500 BE00000B
	ds_read_b64_tr_b16 a[192:193], v10 offset:14336            // 00000000A530: DBC63800 C000000A
	ds_read_b64_tr_b16 a[194:195], v10 offset:14592            // 00000000A538: DBC63900 C200000A
	ds_read_b64_tr_b16 a[196:197], v11 offset:14336            // 00000000A540: DBC63800 C400000B
	ds_read_b64_tr_b16 a[198:199], v11 offset:14592            // 00000000A548: DBC63900 C600000B
	ds_read_b64_tr_b16 a[200:201], v10 offset:15360            // 00000000A550: DBC63C00 C800000A
	ds_read_b64_tr_b16 a[202:203], v10 offset:15616            // 00000000A558: DBC63D00 CA00000A
	ds_read_b64_tr_b16 a[204:205], v11 offset:15360            // 00000000A560: DBC63C00 CC00000B
	ds_read_b64_tr_b16 a[206:207], v11 offset:15616            // 00000000A568: DBC63D00 CE00000B
	s_waitcnt lgkmcnt(0)                                       // 00000000A570: BF8CC07F
	v_mfma_f32_16x16x32_bf16 v[114:117], a[144:147], v[42:45], v[114:117]// 00000000A574: D3B50072 0DCA5590
	v_mfma_f32_16x16x32_bf16 v[118:121], a[148:151], v[42:45], v[118:121]// 00000000A57C: D3B50076 0DDA5594
	v_mfma_f32_16x16x32_bf16 v[122:125], a[152:155], v[42:45], v[122:125]// 00000000A584: D3B5007A 0DEA5598
	v_mfma_f32_16x16x32_bf16 v[126:129], a[156:159], v[42:45], v[126:129]// 00000000A58C: D3B5007E 0DFA559C
	v_mfma_f32_16x16x32_bf16 v[130:133], a[160:163], v[42:45], v[130:133]// 00000000A594: D3B50082 0E0A55A0
	v_mfma_f32_16x16x32_bf16 v[134:137], a[164:167], v[42:45], v[134:137]// 00000000A59C: D3B50086 0E1A55A4
	v_mfma_f32_16x16x32_bf16 v[138:141], a[168:171], v[42:45], v[138:141]// 00000000A5A4: D3B5008A 0E2A55A8
	v_mfma_f32_16x16x32_bf16 v[142:145], a[172:175], v[42:45], v[142:145]// 00000000A5AC: D3B5008E 0E3A55AC
	v_mfma_f32_16x16x32_bf16 v[146:149], a[176:179], v[42:45], v[146:149]// 00000000A5B4: D3B50092 0E4A55B0
	v_mfma_f32_16x16x32_bf16 v[150:153], a[180:183], v[42:45], v[150:153]// 00000000A5BC: D3B50096 0E5A55B4
	v_mfma_f32_16x16x32_bf16 v[154:157], a[184:187], v[42:45], v[154:157]// 00000000A5C4: D3B5009A 0E6A55B8
	v_mfma_f32_16x16x32_bf16 v[158:161], a[188:191], v[42:45], v[158:161]// 00000000A5CC: D3B5009E 0E7A55BC
	v_mfma_f32_16x16x32_bf16 v[162:165], a[192:195], v[42:45], v[162:165]// 00000000A5D4: D3B500A2 0E8A55C0
	v_mfma_f32_16x16x32_bf16 v[166:169], a[196:199], v[42:45], v[166:169]// 00000000A5DC: D3B500A6 0E9A55C4
	v_mfma_f32_16x16x32_bf16 v[170:173], a[200:203], v[42:45], v[170:173]// 00000000A5E4: D3B500AA 0EAA55C8
	v_mfma_f32_16x16x32_bf16 v[174:177], a[204:207], v[42:45], v[174:177]// 00000000A5EC: D3B500AE 0EBA55CC
	ds_read_b64_tr_b16 a[144:145], v12                         // 00000000A5F4: DBC60000 9000000C
	ds_read_b64_tr_b16 a[146:147], v12 offset:256              // 00000000A5FC: DBC60100 9200000C
	ds_read_b64_tr_b16 a[148:149], v13                         // 00000000A604: DBC60000 9400000D
	ds_read_b64_tr_b16 a[150:151], v13 offset:256              // 00000000A60C: DBC60100 9600000D
	ds_read_b64_tr_b16 a[152:153], v12 offset:1024             // 00000000A614: DBC60400 9800000C
	ds_read_b64_tr_b16 a[154:155], v12 offset:1280             // 00000000A61C: DBC60500 9A00000C
	ds_read_b64_tr_b16 a[156:157], v13 offset:1024             // 00000000A624: DBC60400 9C00000D
	ds_read_b64_tr_b16 a[158:159], v13 offset:1280             // 00000000A62C: DBC60500 9E00000D
	ds_read_b64_tr_b16 a[160:161], v12 offset:2048             // 00000000A634: DBC60800 A000000C
	ds_read_b64_tr_b16 a[162:163], v12 offset:2304             // 00000000A63C: DBC60900 A200000C
	ds_read_b64_tr_b16 a[164:165], v13 offset:2048             // 00000000A644: DBC60800 A400000D
	ds_read_b64_tr_b16 a[166:167], v13 offset:2304             // 00000000A64C: DBC60900 A600000D
	ds_read_b64_tr_b16 a[168:169], v12 offset:3072             // 00000000A654: DBC60C00 A800000C
	ds_read_b64_tr_b16 a[170:171], v12 offset:3328             // 00000000A65C: DBC60D00 AA00000C
	ds_read_b64_tr_b16 a[172:173], v13 offset:3072             // 00000000A664: DBC60C00 AC00000D
	ds_read_b64_tr_b16 a[174:175], v13 offset:3328             // 00000000A66C: DBC60D00 AE00000D
	ds_read_b64_tr_b16 a[176:177], v12 offset:4096             // 00000000A674: DBC61000 B000000C
	ds_read_b64_tr_b16 a[178:179], v12 offset:4352             // 00000000A67C: DBC61100 B200000C
	ds_read_b64_tr_b16 a[180:181], v13 offset:4096             // 00000000A684: DBC61000 B400000D
	ds_read_b64_tr_b16 a[182:183], v13 offset:4352             // 00000000A68C: DBC61100 B600000D
	ds_read_b64_tr_b16 a[184:185], v12 offset:5120             // 00000000A694: DBC61400 B800000C
	ds_read_b64_tr_b16 a[186:187], v12 offset:5376             // 00000000A69C: DBC61500 BA00000C
	ds_read_b64_tr_b16 a[188:189], v13 offset:5120             // 00000000A6A4: DBC61400 BC00000D
	ds_read_b64_tr_b16 a[190:191], v13 offset:5376             // 00000000A6AC: DBC61500 BE00000D
	ds_read_b64_tr_b16 a[192:193], v12 offset:6144             // 00000000A6B4: DBC61800 C000000C
	ds_read_b64_tr_b16 a[194:195], v12 offset:6400             // 00000000A6BC: DBC61900 C200000C
	ds_read_b64_tr_b16 a[196:197], v13 offset:6144             // 00000000A6C4: DBC61800 C400000D
	ds_read_b64_tr_b16 a[198:199], v13 offset:6400             // 00000000A6CC: DBC61900 C600000D
	ds_read_b64_tr_b16 a[200:201], v12 offset:7168             // 00000000A6D4: DBC61C00 C800000C
	ds_read_b64_tr_b16 a[202:203], v12 offset:7424             // 00000000A6DC: DBC61D00 CA00000C
	ds_read_b64_tr_b16 a[204:205], v13 offset:7168             // 00000000A6E4: DBC61C00 CC00000D
	ds_read_b64_tr_b16 a[206:207], v13 offset:7424             // 00000000A6EC: DBC61D00 CE00000D
	v_mov_b32_e32 v30, v16                                     // 00000000A6F4: 7E3C0310
	v_mov_b32_e32 v31, v16                                     // 00000000A6F8: 7E3E0310
	v_pk_mul_f32 v[50:51], v[30:31], v[50:51]                  // 00000000A6FC: D3B14032 1802651E
	v_pk_mul_f32 v[52:53], v[30:31], v[52:53]                  // 00000000A704: D3B14034 1802691E
	v_pk_mul_f32 v[54:55], v[30:31], v[54:55]                  // 00000000A70C: D3B14036 18026D1E
	v_pk_mul_f32 v[56:57], v[30:31], v[56:57]                  // 00000000A714: D3B14038 1802711E
	v_pk_mul_f32 v[58:59], v[30:31], v[58:59]                  // 00000000A71C: D3B1403A 1802751E
	v_pk_mul_f32 v[60:61], v[30:31], v[60:61]                  // 00000000A724: D3B1403C 1802791E
	v_pk_mul_f32 v[62:63], v[30:31], v[62:63]                  // 00000000A72C: D3B1403E 18027D1E
	v_pk_mul_f32 v[64:65], v[30:31], v[64:65]                  // 00000000A734: D3B14040 1802811E
	v_pk_mul_f32 v[66:67], v[30:31], v[66:67]                  // 00000000A73C: D3B14042 1802851E
	v_pk_mul_f32 v[68:69], v[30:31], v[68:69]                  // 00000000A744: D3B14044 1802891E
	v_pk_mul_f32 v[70:71], v[30:31], v[70:71]                  // 00000000A74C: D3B14046 18028D1E
	v_pk_mul_f32 v[72:73], v[30:31], v[72:73]                  // 00000000A754: D3B14048 1802911E
	v_pk_mul_f32 v[74:75], v[30:31], v[74:75]                  // 00000000A75C: D3B1404A 1802951E
	v_pk_mul_f32 v[76:77], v[30:31], v[76:77]                  // 00000000A764: D3B1404C 1802991E
	v_pk_mul_f32 v[78:79], v[30:31], v[78:79]                  // 00000000A76C: D3B1404E 18029D1E
	v_pk_mul_f32 v[80:81], v[30:31], v[80:81]                  // 00000000A774: D3B14050 1802A11E
	v_pk_mul_f32 v[82:83], v[30:31], v[82:83]                  // 00000000A77C: D3B14052 1802A51E
	v_pk_mul_f32 v[84:85], v[30:31], v[84:85]                  // 00000000A784: D3B14054 1802A91E
	v_pk_mul_f32 v[86:87], v[30:31], v[86:87]                  // 00000000A78C: D3B14056 1802AD1E
	v_pk_mul_f32 v[88:89], v[30:31], v[88:89]                  // 00000000A794: D3B14058 1802B11E
	v_pk_mul_f32 v[90:91], v[30:31], v[90:91]                  // 00000000A79C: D3B1405A 1802B51E
	v_pk_mul_f32 v[92:93], v[30:31], v[92:93]                  // 00000000A7A4: D3B1405C 1802B91E
	v_pk_mul_f32 v[94:95], v[30:31], v[94:95]                  // 00000000A7AC: D3B1405E 1802BD1E
	v_pk_mul_f32 v[96:97], v[30:31], v[96:97]                  // 00000000A7B4: D3B14060 1802C11E
	v_pk_mul_f32 v[98:99], v[30:31], v[98:99]                  // 00000000A7BC: D3B14062 1802C51E
	v_pk_mul_f32 v[100:101], v[30:31], v[100:101]              // 00000000A7C4: D3B14064 1802C91E
	v_pk_mul_f32 v[102:103], v[30:31], v[102:103]              // 00000000A7CC: D3B14066 1802CD1E
	v_pk_mul_f32 v[104:105], v[30:31], v[104:105]              // 00000000A7D4: D3B14068 1802D11E
	v_pk_mul_f32 v[106:107], v[30:31], v[106:107]              // 00000000A7DC: D3B1406A 1802D51E
	v_pk_mul_f32 v[108:109], v[30:31], v[108:109]              // 00000000A7E4: D3B1406C 1802D91E
	v_pk_mul_f32 v[110:111], v[30:31], v[110:111]              // 00000000A7EC: D3B1406E 1802DD1E
	v_pk_mul_f32 v[112:113], v[30:31], v[112:113]              // 00000000A7F4: D3B14070 1802E11E
	v_pk_mul_f32 v[114:115], v[30:31], v[114:115]              // 00000000A7FC: D3B14072 1802E51E
	v_pk_mul_f32 v[116:117], v[30:31], v[116:117]              // 00000000A804: D3B14074 1802E91E
	v_pk_mul_f32 v[118:119], v[30:31], v[118:119]              // 00000000A80C: D3B14076 1802ED1E
	v_pk_mul_f32 v[120:121], v[30:31], v[120:121]              // 00000000A814: D3B14078 1802F11E
	v_pk_mul_f32 v[122:123], v[30:31], v[122:123]              // 00000000A81C: D3B1407A 1802F51E
	v_pk_mul_f32 v[124:125], v[30:31], v[124:125]              // 00000000A824: D3B1407C 1802F91E
	v_pk_mul_f32 v[126:127], v[30:31], v[126:127]              // 00000000A82C: D3B1407E 1802FD1E
	v_pk_mul_f32 v[128:129], v[30:31], v[128:129]              // 00000000A834: D3B14080 1803011E
	v_pk_mul_f32 v[130:131], v[30:31], v[130:131]              // 00000000A83C: D3B14082 1803051E
	v_pk_mul_f32 v[132:133], v[30:31], v[132:133]              // 00000000A844: D3B14084 1803091E
	v_pk_mul_f32 v[134:135], v[30:31], v[134:135]              // 00000000A84C: D3B14086 18030D1E
	v_pk_mul_f32 v[136:137], v[30:31], v[136:137]              // 00000000A854: D3B14088 1803111E
	v_pk_mul_f32 v[138:139], v[30:31], v[138:139]              // 00000000A85C: D3B1408A 1803151E
	v_pk_mul_f32 v[140:141], v[30:31], v[140:141]              // 00000000A864: D3B1408C 1803191E
	v_pk_mul_f32 v[142:143], v[30:31], v[142:143]              // 00000000A86C: D3B1408E 18031D1E
	v_pk_mul_f32 v[144:145], v[30:31], v[144:145]              // 00000000A874: D3B14090 1803211E
	v_pk_mul_f32 v[146:147], v[30:31], v[146:147]              // 00000000A87C: D3B14092 1803251E
	v_pk_mul_f32 v[148:149], v[30:31], v[148:149]              // 00000000A884: D3B14094 1803291E
	v_pk_mul_f32 v[150:151], v[30:31], v[150:151]              // 00000000A88C: D3B14096 18032D1E
	v_pk_mul_f32 v[152:153], v[30:31], v[152:153]              // 00000000A894: D3B14098 1803311E
	v_pk_mul_f32 v[154:155], v[30:31], v[154:155]              // 00000000A89C: D3B1409A 1803351E
	v_pk_mul_f32 v[156:157], v[30:31], v[156:157]              // 00000000A8A4: D3B1409C 1803391E
	v_pk_mul_f32 v[158:159], v[30:31], v[158:159]              // 00000000A8AC: D3B1409E 18033D1E
	v_pk_mul_f32 v[160:161], v[30:31], v[160:161]              // 00000000A8B4: D3B140A0 1803411E
	v_pk_mul_f32 v[162:163], v[30:31], v[162:163]              // 00000000A8BC: D3B140A2 1803451E
	v_pk_mul_f32 v[164:165], v[30:31], v[164:165]              // 00000000A8C4: D3B140A4 1803491E
	v_pk_mul_f32 v[166:167], v[30:31], v[166:167]              // 00000000A8CC: D3B140A6 18034D1E
	v_pk_mul_f32 v[168:169], v[30:31], v[168:169]              // 00000000A8D4: D3B140A8 1803511E
	v_pk_mul_f32 v[170:171], v[30:31], v[170:171]              // 00000000A8DC: D3B140AA 1803551E
	v_pk_mul_f32 v[172:173], v[30:31], v[172:173]              // 00000000A8E4: D3B140AC 1803591E
	v_pk_mul_f32 v[174:175], v[30:31], v[174:175]              // 00000000A8EC: D3B140AE 18035D1E
	v_pk_mul_f32 v[176:177], v[30:31], v[176:177]              // 00000000A8F4: D3B140B0 1803611E
	s_waitcnt lgkmcnt(4)                                       // 00000000A8FC: BF8CC47F
	v_mfma_f32_16x16x32_bf16 v[50:53], a[144:147], v[34:37], v[50:53]// 00000000A900: D3B50032 0CCA4590
	v_mfma_f32_16x16x32_bf16 v[54:57], a[148:151], v[34:37], v[54:57]// 00000000A908: D3B50036 0CDA4594
	v_mfma_f32_16x16x32_bf16 v[58:61], a[152:155], v[34:37], v[58:61]// 00000000A910: D3B5003A 0CEA4598
	v_mfma_f32_16x16x32_bf16 v[62:65], a[156:159], v[34:37], v[62:65]// 00000000A918: D3B5003E 0CFA459C
	v_mfma_f32_16x16x32_bf16 v[66:69], a[160:163], v[34:37], v[66:69]// 00000000A920: D3B50042 0D0A45A0
	v_mfma_f32_16x16x32_bf16 v[70:73], a[164:167], v[34:37], v[70:73]// 00000000A928: D3B50046 0D1A45A4
	v_mfma_f32_16x16x32_bf16 v[74:77], a[168:171], v[34:37], v[74:77]// 00000000A930: D3B5004A 0D2A45A8
	v_mfma_f32_16x16x32_bf16 v[78:81], a[172:175], v[34:37], v[78:81]// 00000000A938: D3B5004E 0D3A45AC
	v_mfma_f32_16x16x32_bf16 v[82:85], a[176:179], v[34:37], v[82:85]// 00000000A940: D3B50052 0D4A45B0
	v_mfma_f32_16x16x32_bf16 v[86:89], a[180:183], v[34:37], v[86:89]// 00000000A948: D3B50056 0D5A45B4
	v_mfma_f32_16x16x32_bf16 v[90:93], a[184:187], v[34:37], v[90:93]// 00000000A950: D3B5005A 0D6A45B8
	v_mfma_f32_16x16x32_bf16 v[94:97], a[188:191], v[34:37], v[94:97]// 00000000A958: D3B5005E 0D7A45BC
	v_mfma_f32_16x16x32_bf16 v[98:101], a[192:195], v[34:37], v[98:101]// 00000000A960: D3B50062 0D8A45C0
	v_mfma_f32_16x16x32_bf16 v[102:105], a[196:199], v[34:37], v[102:105]// 00000000A968: D3B50066 0D9A45C4
	v_mfma_f32_16x16x32_bf16 v[106:109], a[200:203], v[34:37], v[106:109]// 00000000A970: D3B5006A 0DAA45C8
	v_mfma_f32_16x16x32_bf16 v[110:113], a[204:207], v[34:37], v[110:113]// 00000000A978: D3B5006E 0DBA45CC
	ds_read_b64_tr_b16 a[144:145], v12 offset:8192             // 00000000A980: DBC62000 9000000C
	ds_read_b64_tr_b16 a[146:147], v12 offset:8448             // 00000000A988: DBC62100 9200000C
	ds_read_b64_tr_b16 a[148:149], v13 offset:8192             // 00000000A990: DBC62000 9400000D
	ds_read_b64_tr_b16 a[150:151], v13 offset:8448             // 00000000A998: DBC62100 9600000D
	ds_read_b64_tr_b16 a[152:153], v12 offset:9216             // 00000000A9A0: DBC62400 9800000C
	ds_read_b64_tr_b16 a[154:155], v12 offset:9472             // 00000000A9A8: DBC62500 9A00000C
	ds_read_b64_tr_b16 a[156:157], v13 offset:9216             // 00000000A9B0: DBC62400 9C00000D
	ds_read_b64_tr_b16 a[158:159], v13 offset:9472             // 00000000A9B8: DBC62500 9E00000D
	ds_read_b64_tr_b16 a[160:161], v12 offset:10240            // 00000000A9C0: DBC62800 A000000C
	ds_read_b64_tr_b16 a[162:163], v12 offset:10496            // 00000000A9C8: DBC62900 A200000C
	ds_read_b64_tr_b16 a[164:165], v13 offset:10240            // 00000000A9D0: DBC62800 A400000D
	ds_read_b64_tr_b16 a[166:167], v13 offset:10496            // 00000000A9D8: DBC62900 A600000D
	ds_read_b64_tr_b16 a[168:169], v12 offset:11264            // 00000000A9E0: DBC62C00 A800000C
	ds_read_b64_tr_b16 a[170:171], v12 offset:11520            // 00000000A9E8: DBC62D00 AA00000C
	ds_read_b64_tr_b16 a[172:173], v13 offset:11264            // 00000000A9F0: DBC62C00 AC00000D
	ds_read_b64_tr_b16 a[174:175], v13 offset:11520            // 00000000A9F8: DBC62D00 AE00000D
	ds_read_b64_tr_b16 a[176:177], v12 offset:12288            // 00000000AA00: DBC63000 B000000C
	ds_read_b64_tr_b16 a[178:179], v12 offset:12544            // 00000000AA08: DBC63100 B200000C
	ds_read_b64_tr_b16 a[180:181], v13 offset:12288            // 00000000AA10: DBC63000 B400000D
	ds_read_b64_tr_b16 a[182:183], v13 offset:12544            // 00000000AA18: DBC63100 B600000D
	ds_read_b64_tr_b16 a[184:185], v12 offset:13312            // 00000000AA20: DBC63400 B800000C
	ds_read_b64_tr_b16 a[186:187], v12 offset:13568            // 00000000AA28: DBC63500 BA00000C
	ds_read_b64_tr_b16 a[188:189], v13 offset:13312            // 00000000AA30: DBC63400 BC00000D
	ds_read_b64_tr_b16 a[190:191], v13 offset:13568            // 00000000AA38: DBC63500 BE00000D
	ds_read_b64_tr_b16 a[192:193], v12 offset:14336            // 00000000AA40: DBC63800 C000000C
	ds_read_b64_tr_b16 a[194:195], v12 offset:14592            // 00000000AA48: DBC63900 C200000C
	ds_read_b64_tr_b16 a[196:197], v13 offset:14336            // 00000000AA50: DBC63800 C400000D
	ds_read_b64_tr_b16 a[198:199], v13 offset:14592            // 00000000AA58: DBC63900 C600000D
	ds_read_b64_tr_b16 a[200:201], v12 offset:15360            // 00000000AA60: DBC63C00 C800000C
	ds_read_b64_tr_b16 a[202:203], v12 offset:15616            // 00000000AA68: DBC63D00 CA00000C
	ds_read_b64_tr_b16 a[204:205], v13 offset:15360            // 00000000AA70: DBC63C00 CC00000D
	ds_read_b64_tr_b16 a[206:207], v13 offset:15616            // 00000000AA78: DBC63D00 CE00000D
	s_waitcnt vmcnt(0)                                         // 00000000AA80: BF8C0F70
	s_barrier                                                  // 00000000AA84: BF8A0000
	s_waitcnt lgkmcnt(0)                                       // 00000000AA88: BF8CC07F
	v_mfma_f32_16x16x32_bf16 v[114:117], a[144:147], v[34:37], v[114:117]// 00000000AA8C: D3B50072 0DCA4590
	ds_read_b128 a[72:75], v21                                 // 00000000AA94: DBFE0000 48000015
	ds_read_b128 a[76:79], v21 offset:1024                     // 00000000AA9C: DBFE0400 4C000015
	v_mfma_f32_16x16x32_bf16 v[118:121], a[148:151], v[34:37], v[118:121]// 00000000AAA4: D3B50076 0DDA4594
	ds_read_b128 a[80:83], v21 offset:2048                     // 00000000AAAC: DBFE0800 50000015
	ds_read_b128 a[84:87], v21 offset:3072                     // 00000000AAB4: DBFE0C00 54000015
	v_mfma_f32_16x16x32_bf16 v[122:125], a[152:155], v[34:37], v[122:125]// 00000000AABC: D3B5007A 0DEA4598
	ds_read_b128 a[88:91], v21 offset:4096                     // 00000000AAC4: DBFE1000 58000015
	ds_read_b128 a[92:95], v21 offset:5120                     // 00000000AACC: DBFE1400 5C000015
	v_mfma_f32_16x16x32_bf16 v[126:129], a[156:159], v[34:37], v[126:129]// 00000000AAD4: D3B5007E 0DFA459C
	ds_read_b128 a[96:99], v21 offset:6144                     // 00000000AADC: DBFE1800 60000015
	ds_read_b128 a[100:103], v21 offset:7168                   // 00000000AAE4: DBFE1C00 64000015
	v_mfma_f32_16x16x32_bf16 v[130:133], a[160:163], v[34:37], v[130:133]// 00000000AAEC: D3B50082 0E0A45A0
	ds_read_b128 a[104:107], v21 offset:8192                   // 00000000AAF4: DBFE2000 68000015
	ds_read_b128 a[108:111], v21 offset:9216                   // 00000000AAFC: DBFE2400 6C000015
	v_mfma_f32_16x16x32_bf16 v[134:137], a[164:167], v[34:37], v[134:137]// 00000000AB04: D3B50086 0E1A45A4
	ds_read_b128 a[112:115], v21 offset:10240                  // 00000000AB0C: DBFE2800 70000015
	ds_read_b128 a[116:119], v21 offset:11264                  // 00000000AB14: DBFE2C00 74000015
	v_mfma_f32_16x16x32_bf16 v[138:141], a[168:171], v[34:37], v[138:141]// 00000000AB1C: D3B5008A 0E2A45A8
	ds_read_b128 a[120:123], v21 offset:12288                  // 00000000AB24: DBFE3000 78000015
	ds_read_b128 a[124:127], v21 offset:13312                  // 00000000AB2C: DBFE3400 7C000015
	v_mfma_f32_16x16x32_bf16 v[142:145], a[172:175], v[34:37], v[142:145]// 00000000AB34: D3B5008E 0E3A45AC
	ds_read_b128 a[128:131], v21 offset:14336                  // 00000000AB3C: DBFE3800 80000015
	ds_read_b128 a[132:135], v21 offset:15360                  // 00000000AB44: DBFE3C00 84000015
	v_mfma_f32_16x16x32_bf16 v[146:149], a[176:179], v[34:37], v[146:149]// 00000000AB4C: D3B50092 0E4A45B0
	ds_read_b128 a[136:139], v21 offset:16384                  // 00000000AB54: DBFE4000 88000015
	ds_read_b128 a[140:143], v21 offset:17408                  // 00000000AB5C: DBFE4400 8C000015
	v_mfma_f32_16x16x32_bf16 v[150:153], a[180:183], v[34:37], v[150:153]// 00000000AB64: D3B50096 0E5A45B4
	v_mfma_f32_16x16x32_bf16 v[154:157], a[184:187], v[34:37], v[154:157]// 00000000AB6C: D3B5009A 0E6A45B8
	v_mfma_f32_16x16x32_bf16 v[158:161], a[188:191], v[34:37], v[158:161]// 00000000AB74: D3B5009E 0E7A45BC
	v_mfma_f32_16x16x32_bf16 v[162:165], a[192:195], v[34:37], v[162:165]// 00000000AB7C: D3B500A2 0E8A45C0
	v_mfma_f32_16x16x32_bf16 v[166:169], a[196:199], v[34:37], v[166:169]// 00000000AB84: D3B500A6 0E9A45C4
	v_mfma_f32_16x16x32_bf16 v[170:173], a[200:203], v[34:37], v[170:173]// 00000000AB8C: D3B500AA 0EAA45C8
	v_mfma_f32_16x16x32_bf16 v[174:177], a[204:207], v[34:37], v[174:177]// 00000000AB94: D3B500AE 0EBA45CC
	s_branch label_86A0                                        // 00000000AB9C: BF820000

000000000000aba0 <label_86A0>:
	s_cmp_eq_i32 s48, 0                                        // 00000000ABA0: BF008030
	s_cbranch_scc1 label_ACF4                                  // 00000000ABA4: BF850911

000000000000aba8 <label_86A8>:
	s_and_b32 s56, 3, s71                                      // 00000000ABA8: 86384783
	s_cmp_eq_i32 s56, 0                                        // 00000000ABAC: BF008038
	s_cbranch_scc1 label_98DC                                  // 00000000ABB0: BF85048A
	s_cmp_eq_i32 s56, 1                                        // 00000000ABB4: BF008138
	s_cbranch_scc1 label_A1E4                                  // 00000000ABB8: BF8506CA
	s_cmp_eq_i32 s56, 3                                        // 00000000ABBC: BF008338
	s_cbranch_scc1 label_8FD4                                  // 00000000ABC0: BF850244
	s_cmp_eq_i32 s56, 2                                        // 00000000ABC4: BF008238
	s_cbranch_scc1 label_86CC                                  // 00000000ABC8: BF850000

000000000000abcc <label_86CC>:
	s_waitcnt lgkmcnt(0)                                       // 00000000ABCC: BF8CC07F
	v_mfma_f32_16x16x32_bf16 v[34:37], a[72:75], a[0:3], 0     // 00000000ABD0: D3B50022 1A020148
	v_mfma_f32_16x16x32_bf16 v[34:37], a[76:79], a[4:7], v[34:37]// 00000000ABD8: D3B50022 1C8A094C
	v_mfma_f32_16x16x32_bf16 v[34:37], a[80:83], a[8:11], v[34:37]// 00000000ABE0: D3B50022 1C8A1150
	v_mfma_f32_16x16x32_bf16 v[34:37], a[84:87], a[12:15], v[34:37]// 00000000ABE8: D3B50022 1C8A1954
	v_mfma_f32_16x16x32_bf16 v[34:37], a[88:91], a[16:19], v[34:37]// 00000000ABF0: D3B50022 1C8A2158
	v_mfma_f32_16x16x32_bf16 v[34:37], a[92:95], a[20:23], v[34:37]// 00000000ABF8: D3B50022 1C8A295C
	v_mfma_f32_16x16x32_bf16 v[34:37], a[96:99], a[24:27], v[34:37]// 00000000AC00: D3B50022 1C8A3160
	v_mfma_f32_16x16x32_bf16 v[34:37], a[100:103], a[28:31], v[34:37]// 00000000AC08: D3B50022 1C8A3964
	ds_read_b128 a[72:75], v18 offset:18432                    // 00000000AC10: DBFE4800 48000012
	ds_read_b128 a[76:79], v18 offset:19456                    // 00000000AC18: DBFE4C00 4C000012
	v_mfma_f32_16x16x32_bf16 v[34:37], a[104:107], a[32:35], v[34:37]// 00000000AC20: D3B50022 1C8A4168
	v_mfma_f32_16x16x32_bf16 v[34:37], a[108:111], a[36:39], v[34:37]// 00000000AC28: D3B50022 1C8A496C
	ds_read_b128 a[80:83], v18 offset:20480                    // 00000000AC30: DBFE5000 50000012
	ds_read_b128 a[84:87], v18 offset:21504                    // 00000000AC38: DBFE5400 54000012
	v_mfma_f32_16x16x32_bf16 v[34:37], a[112:115], a[40:43], v[34:37]// 00000000AC40: D3B50022 1C8A5170
	v_mfma_f32_16x16x32_bf16 v[34:37], a[116:119], a[44:47], v[34:37]// 00000000AC48: D3B50022 1C8A5974
	ds_read_b128 a[88:91], v18 offset:22528                    // 00000000AC50: DBFE5800 58000012
	ds_read_b128 a[92:95], v18 offset:23552                    // 00000000AC58: DBFE5C00 5C000012
	v_mfma_f32_16x16x32_bf16 v[34:37], a[120:123], a[48:51], v[34:37]// 00000000AC60: D3B50022 1C8A6178
	v_mfma_f32_16x16x32_bf16 v[34:37], a[124:127], a[52:55], v[34:37]// 00000000AC68: D3B50022 1C8A697C
	ds_read_b128 a[96:99], v18 offset:24576                    // 00000000AC70: DBFE6000 60000012
	ds_read_b128 a[100:103], v18 offset:25600                  // 00000000AC78: DBFE6400 64000012
	v_mfma_f32_16x16x32_bf16 v[34:37], a[128:131], a[56:59], v[34:37]// 00000000AC80: D3B50022 1C8A7180
	v_mfma_f32_16x16x32_bf16 v[34:37], a[132:135], a[60:63], v[34:37]// 00000000AC88: D3B50022 1C8A7984
	ds_read_b128 a[104:107], v18 offset:26624                  // 00000000AC90: DBFE6800 68000012
	ds_read_b128 a[108:111], v18 offset:27648                  // 00000000AC98: DBFE6C00 6C000012
	v_mfma_f32_16x16x32_bf16 v[34:37], a[136:139], a[64:67], v[34:37]// 00000000ACA0: D3B50022 1C8A8188
	v_mfma_f32_16x16x32_bf16 v[34:37], a[140:143], a[68:71], v[34:37]// 00000000ACA8: D3B50022 1C8A898C
	ds_read_b128 a[112:115], v18 offset:28672                  // 00000000ACB0: DBFE7000 70000012
	ds_read_b128 a[116:119], v18 offset:29696                  // 00000000ACB8: DBFE7400 74000012
	ds_read_b128 a[120:123], v18 offset:30720                  // 00000000ACC0: DBFE7800 78000012
	ds_read_b128 a[124:127], v18 offset:31744                  // 00000000ACC8: DBFE7C00 7C000012
	ds_read_b128 a[128:131], v18 offset:32768                  // 00000000ACD0: DBFE8000 80000012
	ds_read_b128 a[132:135], v18 offset:33792                  // 00000000ACD8: DBFE8400 84000012
	ds_read_b128 a[136:139], v18 offset:34816                  // 00000000ACE0: DBFE8800 88000012
	ds_read_b128 a[140:143], v18 offset:35840                  // 00000000ACE8: DBFE8C00 8C000012
	s_waitcnt lgkmcnt(0)                                       // 00000000ACF0: BF8CC07F
	v_mfma_f32_16x16x32_bf16 v[38:41], a[72:75], a[0:3], 0     // 00000000ACF4: D3B50026 1A020148
	ds_read_b64_tr_b16 a[144:145], v8                          // 00000000ACFC: DBC60000 90000008
	ds_read_b64_tr_b16 a[146:147], v8 offset:256               // 00000000AD04: DBC60100 92000008
	ds_read_b64_tr_b16 a[148:149], v9                          // 00000000AD0C: DBC60000 94000009
	ds_read_b64_tr_b16 a[150:151], v9 offset:256               // 00000000AD14: DBC60100 96000009
	v_mfma_f32_16x16x32_bf16 v[38:41], a[76:79], a[4:7], v[38:41]// 00000000AD1C: D3B50026 1C9A094C
	ds_read_b64_tr_b16 a[152:153], v8 offset:1024              // 00000000AD24: DBC60400 98000008
	ds_read_b64_tr_b16 a[154:155], v8 offset:1280              // 00000000AD2C: DBC60500 9A000008
	ds_read_b64_tr_b16 a[156:157], v9 offset:1024              // 00000000AD34: DBC60400 9C000009
	ds_read_b64_tr_b16 a[158:159], v9 offset:1280              // 00000000AD3C: DBC60500 9E000009
	v_mfma_f32_16x16x32_bf16 v[38:41], a[80:83], a[8:11], v[38:41]// 00000000AD44: D3B50026 1C9A1150
	ds_read_b64_tr_b16 a[160:161], v8 offset:2048              // 00000000AD4C: DBC60800 A0000008
	ds_read_b64_tr_b16 a[162:163], v8 offset:2304              // 00000000AD54: DBC60900 A2000008
	ds_read_b64_tr_b16 a[164:165], v9 offset:2048              // 00000000AD5C: DBC60800 A4000009
	ds_read_b64_tr_b16 a[166:167], v9 offset:2304              // 00000000AD64: DBC60900 A6000009
	v_mfma_f32_16x16x32_bf16 v[38:41], a[84:87], a[12:15], v[38:41]// 00000000AD6C: D3B50026 1C9A1954
	ds_read_b64_tr_b16 a[168:169], v8 offset:3072              // 00000000AD74: DBC60C00 A8000008
	ds_read_b64_tr_b16 a[170:171], v8 offset:3328              // 00000000AD7C: DBC60D00 AA000008
	ds_read_b64_tr_b16 a[172:173], v9 offset:3072              // 00000000AD84: DBC60C00 AC000009
	ds_read_b64_tr_b16 a[174:175], v9 offset:3328              // 00000000AD8C: DBC60D00 AE000009
	v_mfma_f32_16x16x32_bf16 v[38:41], a[88:91], a[16:19], v[38:41]// 00000000AD94: D3B50026 1C9A2158
	ds_read_b64_tr_b16 a[176:177], v8 offset:4096              // 00000000AD9C: DBC61000 B0000008
	ds_read_b64_tr_b16 a[178:179], v8 offset:4352              // 00000000ADA4: DBC61100 B2000008
	ds_read_b64_tr_b16 a[180:181], v9 offset:4096              // 00000000ADAC: DBC61000 B4000009
	ds_read_b64_tr_b16 a[182:183], v9 offset:4352              // 00000000ADB4: DBC61100 B6000009
	v_mfma_f32_16x16x32_bf16 v[38:41], a[92:95], a[20:23], v[38:41]// 00000000ADBC: D3B50026 1C9A295C
	ds_read_b64_tr_b16 a[184:185], v8 offset:5120              // 00000000ADC4: DBC61400 B8000008
	ds_read_b64_tr_b16 a[186:187], v8 offset:5376              // 00000000ADCC: DBC61500 BA000008
	ds_read_b64_tr_b16 a[188:189], v9 offset:5120              // 00000000ADD4: DBC61400 BC000009
	ds_read_b64_tr_b16 a[190:191], v9 offset:5376              // 00000000ADDC: DBC61500 BE000009
	v_mfma_f32_16x16x32_bf16 v[38:41], a[96:99], a[24:27], v[38:41]// 00000000ADE4: D3B50026 1C9A3160
	ds_read_b64_tr_b16 a[192:193], v8 offset:6144              // 00000000ADEC: DBC61800 C0000008
	ds_read_b64_tr_b16 a[194:195], v8 offset:6400              // 00000000ADF4: DBC61900 C2000008
	ds_read_b64_tr_b16 a[196:197], v9 offset:6144              // 00000000ADFC: DBC61800 C4000009
	ds_read_b64_tr_b16 a[198:199], v9 offset:6400              // 00000000AE04: DBC61900 C6000009
	v_mfma_f32_16x16x32_bf16 v[38:41], a[100:103], a[28:31], v[38:41]// 00000000AE0C: D3B50026 1C9A3964
	ds_read_b64_tr_b16 a[200:201], v8 offset:7168              // 00000000AE14: DBC61C00 C8000008
	ds_read_b64_tr_b16 a[202:203], v8 offset:7424              // 00000000AE1C: DBC61D00 CA000008
	ds_read_b64_tr_b16 a[204:205], v9 offset:7168              // 00000000AE24: DBC61C00 CC000009
	ds_read_b64_tr_b16 a[206:207], v9 offset:7424              // 00000000AE2C: DBC61D00 CE000009
	v_mfma_f32_16x16x32_bf16 v[38:41], a[104:107], a[32:35], v[38:41]// 00000000AE34: D3B50026 1C9A4168
	v_mfma_f32_16x16x32_bf16 v[38:41], a[108:111], a[36:39], v[38:41]// 00000000AE3C: D3B50026 1C9A496C
	v_mfma_f32_16x16x32_bf16 v[38:41], a[112:115], a[40:43], v[38:41]// 00000000AE44: D3B50026 1C9A5170
	v_mfma_f32_16x16x32_bf16 v[38:41], a[116:119], a[44:47], v[38:41]// 00000000AE4C: D3B50026 1C9A5974
	v_mfma_f32_16x16x32_bf16 v[38:41], a[120:123], a[48:51], v[38:41]// 00000000AE54: D3B50026 1C9A6178
	v_mfma_f32_16x16x32_bf16 v[38:41], a[124:127], a[52:55], v[38:41]// 00000000AE5C: D3B50026 1C9A697C
	v_mfma_f32_16x16x32_bf16 v[38:41], a[128:131], a[56:59], v[38:41]// 00000000AE64: D3B50026 1C9A7180
	v_mfma_f32_16x16x32_bf16 v[38:41], a[132:135], a[60:63], v[38:41]// 00000000AE6C: D3B50026 1C9A7984
	v_mfma_f32_16x16x32_bf16 v[38:41], a[136:139], a[64:67], v[38:41]// 00000000AE74: D3B50026 1C9A8188
	v_mfma_f32_16x16x32_bf16 v[38:41], a[140:143], a[68:71], v[38:41]// 00000000AE7C: D3B50026 1C9A898C
	s_nop 8                                                    // 00000000AE84: BF800008
	s_and_b32 s56, s48, 0xff                                   // 00000000AE88: 8638FF30 000000FF
	v_mov_b32_e32 v29, s56                                     // 00000000AE90: 7E3A0238
	v_lshrrev_b32_e32 v18, 4, v0                               // 00000000AE94: 20240084
	v_mul_i32_i24_e32 v18, 4, v18                              // 00000000AE98: 0C242484
	v_add_u32_e32 v19, 1, v18                                  // 00000000AE9C: 68262481
	v_add_u32_e32 v20, 2, v18                                  // 00000000AEA0: 68282482
	v_add_u32_e32 v21, 3, v18                                  // 00000000AEA4: 682A2483
	v_mov_b32_e32 v28, 0xff800000                              // 00000000AEA8: 7E3802FF FF800000
	v_cmp_lt_u32_e64 s[36:37], v18, v29                        // 00000000AEB0: D0C90024 00023B12
	v_add_u32_e32 v18, 16, v18                                 // 00000000AEB8: 68242490
	s_nop 0                                                    // 00000000AEBC: BF800000
	v_cndmask_b32_e64 v34, v28, v34, s[36:37]                  // 00000000AEC0: D1000022 0092451C
	v_cmp_lt_u32_e64 s[36:37], v19, v29                        // 00000000AEC8: D0C90024 00023B13
	v_add_u32_e32 v19, 16, v19                                 // 00000000AED0: 68262690
	s_nop 0                                                    // 00000000AED4: BF800000
	v_cndmask_b32_e64 v35, v28, v35, s[36:37]                  // 00000000AED8: D1000023 0092471C
	v_cmp_lt_u32_e64 s[36:37], v20, v29                        // 00000000AEE0: D0C90024 00023B14
	v_add_u32_e32 v20, 16, v20                                 // 00000000AEE8: 68282890
	s_nop 0                                                    // 00000000AEEC: BF800000
	v_cndmask_b32_e64 v36, v28, v36, s[36:37]                  // 00000000AEF0: D1000024 0092491C
	v_cmp_lt_u32_e64 s[36:37], v21, v29                        // 00000000AEF8: D0C90024 00023B15
	v_add_u32_e32 v21, 16, v21                                 // 00000000AF00: 682A2A90
	s_nop 0                                                    // 00000000AF04: BF800000
	v_cndmask_b32_e64 v37, v28, v37, s[36:37]                  // 00000000AF08: D1000025 00924B1C
	v_cmp_lt_u32_e64 s[36:37], v18, v29                        // 00000000AF10: D0C90024 00023B12
	v_add_u32_e32 v18, 16, v18                                 // 00000000AF18: 68242490
	s_nop 0                                                    // 00000000AF1C: BF800000
	v_cndmask_b32_e64 v38, v28, v38, s[36:37]                  // 00000000AF20: D1000026 00924D1C
	v_cmp_lt_u32_e64 s[36:37], v19, v29                        // 00000000AF28: D0C90024 00023B13
	v_add_u32_e32 v19, 16, v19                                 // 00000000AF30: 68262690
	s_nop 0                                                    // 00000000AF34: BF800000
	v_cndmask_b32_e64 v39, v28, v39, s[36:37]                  // 00000000AF38: D1000027 00924F1C
	v_cmp_lt_u32_e64 s[36:37], v20, v29                        // 00000000AF40: D0C90024 00023B14
	v_add_u32_e32 v20, 16, v20                                 // 00000000AF48: 68282890
	s_nop 0                                                    // 00000000AF4C: BF800000
	v_cndmask_b32_e64 v40, v28, v40, s[36:37]                  // 00000000AF50: D1000028 0092511C
	v_cmp_lt_u32_e64 s[36:37], v21, v29                        // 00000000AF58: D0C90024 00023B15
	v_add_u32_e32 v21, 16, v21                                 // 00000000AF60: 682A2A90
	s_nop 0                                                    // 00000000AF64: BF800000
	v_cndmask_b32_e64 v41, v28, v41, s[36:37]                  // 00000000AF68: D1000029 0092531C
	s_nop 2                                                    // 00000000AF70: BF800002
	v_mov_b32_e32 v29, v34                                     // 00000000AF74: 7E3A0322
	v_max3_f32 v29, v34, v35, v29                              // 00000000AF78: D1D3001D 04764722
	v_max3_f32 v29, v36, v37, v29                              // 00000000AF80: D1D3001D 04764B24
	v_max3_f32 v29, v38, v39, v29                              // 00000000AF88: D1D3001D 04764F26
	v_max3_f32 v29, v40, v41, v29                              // 00000000AF90: D1D3001D 04765328
	v_mov_b32_e32 v28, v29                                     // 00000000AF98: 7E38031D
	v_mov_b32_e32 v29, v29                                     // 00000000AF9C: 7E3A031D
	s_nop 1                                                    // 00000000AFA0: BF800001
	v_permlane16_swap_b32_e32 v28, v29                         // 00000000AFA4: 7E38B31D
	v_mov_b32_e32 v31, v28                                     // 00000000AFA8: 7E3E031C
	v_mov_b32_e32 v30, v29                                     // 00000000AFAC: 7E3C031D
	s_nop 1                                                    // 00000000AFB0: BF800001
	v_permlane32_swap_b32_e32 v28, v29                         // 00000000AFB4: 7E38B51D
	v_permlane32_swap_b32_e32 v30, v31                         // 00000000AFB8: 7E3CB51F
	v_max3_f32 v29, v28, v29, v29                              // 00000000AFBC: D1D3001D 04763B1C
	v_max3_f32 v29, v30, v31, v29                              // 00000000AFC4: D1D3001D 04763F1E
	v_mov_b32_e32 v28, 0xff800000                              // 00000000AFCC: 7E3802FF FF800000
	v_cmp_eq_u32_e64 s[36:37], v28, v2                         // 00000000AFD4: D0CA0024 0002051C
	v_max_f32_e32 v29, v29, v2                                 // 00000000AFDC: 163A051D
	v_sub_f32_e32 v16, v2, v29                                 // 00000000AFE0: 04203B02
	v_cndmask_b32_e64 v16, v16, 0, s[36:37]                    // 00000000AFE4: D1000010 00910110
	v_mov_b32_e32 v2, v29                                      // 00000000AFEC: 7E04031D
	v_mul_f32_e32 v29, s5, v29                                 // 00000000AFF0: 0A3A3A05
	v_mul_f32_e32 v16, s5, v16                                 // 00000000AFF4: 0A202005
	v_exp_f32_e32 v16, v16                                     // 00000000AFF8: 7E204110
	v_fma_f32 v34, v34, s5, -v29                               // 00000000AFFC: D1CB0022 84740B22
	v_fma_f32 v35, v35, s5, -v29                               // 00000000B004: D1CB0023 84740B23
	v_fma_f32 v36, v36, s5, -v29                               // 00000000B00C: D1CB0024 84740B24
	v_fma_f32 v37, v37, s5, -v29                               // 00000000B014: D1CB0025 84740B25
	v_fma_f32 v38, v38, s5, -v29                               // 00000000B01C: D1CB0026 84740B26
	v_fma_f32 v39, v39, s5, -v29                               // 00000000B024: D1CB0027 84740B27
	v_fma_f32 v40, v40, s5, -v29                               // 00000000B02C: D1CB0028 84740B28
	v_fma_f32 v41, v41, s5, -v29                               // 00000000B034: D1CB0029 84740B29
	v_exp_f32_e32 v34, v34                                     // 00000000B03C: 7E444122
	v_exp_f32_e32 v35, v35                                     // 00000000B040: 7E464123
	v_exp_f32_e32 v36, v36                                     // 00000000B044: 7E484124
	v_exp_f32_e32 v37, v37                                     // 00000000B048: 7E4A4125
	v_exp_f32_e32 v38, v38                                     // 00000000B04C: 7E4C4126
	v_exp_f32_e32 v39, v39                                     // 00000000B050: 7E4E4127
	v_exp_f32_e32 v40, v40                                     // 00000000B054: 7E504128
	v_exp_f32_e32 v41, v41                                     // 00000000B058: 7E524129
	v_mul_f32_e32 v4, v16, v4                                  // 00000000B05C: 0A080910
	v_mov_b32_e32 v28, v34                                     // 00000000B060: 7E380322
	v_add_f32_e32 v28, v35, v28                                // 00000000B064: 02383923
	v_add_f32_e32 v28, v36, v28                                // 00000000B068: 02383924
	v_add_f32_e32 v28, v37, v28                                // 00000000B06C: 02383925
	v_add_f32_e32 v28, v38, v28                                // 00000000B070: 02383926
	v_add_f32_e32 v28, v39, v28                                // 00000000B074: 02383927
	v_add_f32_e32 v28, v40, v28                                // 00000000B078: 02383928
	v_add_f32_e32 v28, v41, v28                                // 00000000B07C: 02383929
	v_add_f32_e32 v4, v28, v4                                  // 00000000B080: 0208091C
	v_cvt_pk_bf16_f32 v34, v34, v35                            // 00000000B084: D2680022 00024722
	v_cvt_pk_bf16_f32 v35, v36, v37                            // 00000000B08C: D2680023 00024B24
	v_cvt_pk_bf16_f32 v36, v38, v39                            // 00000000B094: D2680024 00024F26
	v_cvt_pk_bf16_f32 v37, v40, v41                            // 00000000B09C: D2680025 00025328
	s_nop 0                                                    // 00000000B0A4: BF800000
	v_permlane32_swap_b32_e32 v34, v36                         // 00000000B0A8: 7E44B524
	v_permlane32_swap_b32_e32 v35, v37                         // 00000000B0AC: 7E46B525
	s_nop 0                                                    // 00000000B0B0: BF800000
	v_permlane16_swap_b32_e32 v34, v36                         // 00000000B0B4: 7E44B324
	v_permlane16_swap_b32_e32 v35, v37                         // 00000000B0B8: 7E46B325
	v_mov_b32_e32 v30, v16                                     // 00000000B0BC: 7E3C0310
	v_mov_b32_e32 v31, v16                                     // 00000000B0C0: 7E3E0310
	v_pk_mul_f32 v[50:51], v[30:31], v[50:51]                  // 00000000B0C4: D3B14032 1802651E
	v_pk_mul_f32 v[52:53], v[30:31], v[52:53]                  // 00000000B0CC: D3B14034 1802691E
	v_pk_mul_f32 v[54:55], v[30:31], v[54:55]                  // 00000000B0D4: D3B14036 18026D1E
	v_pk_mul_f32 v[56:57], v[30:31], v[56:57]                  // 00000000B0DC: D3B14038 1802711E
	v_pk_mul_f32 v[58:59], v[30:31], v[58:59]                  // 00000000B0E4: D3B1403A 1802751E
	v_pk_mul_f32 v[60:61], v[30:31], v[60:61]                  // 00000000B0EC: D3B1403C 1802791E
	v_pk_mul_f32 v[62:63], v[30:31], v[62:63]                  // 00000000B0F4: D3B1403E 18027D1E
	v_pk_mul_f32 v[64:65], v[30:31], v[64:65]                  // 00000000B0FC: D3B14040 1802811E
	v_pk_mul_f32 v[66:67], v[30:31], v[66:67]                  // 00000000B104: D3B14042 1802851E
	v_pk_mul_f32 v[68:69], v[30:31], v[68:69]                  // 00000000B10C: D3B14044 1802891E
	v_pk_mul_f32 v[70:71], v[30:31], v[70:71]                  // 00000000B114: D3B14046 18028D1E
	v_pk_mul_f32 v[72:73], v[30:31], v[72:73]                  // 00000000B11C: D3B14048 1802911E
	v_pk_mul_f32 v[74:75], v[30:31], v[74:75]                  // 00000000B124: D3B1404A 1802951E
	v_pk_mul_f32 v[76:77], v[30:31], v[76:77]                  // 00000000B12C: D3B1404C 1802991E
	v_pk_mul_f32 v[78:79], v[30:31], v[78:79]                  // 00000000B134: D3B1404E 18029D1E
	v_pk_mul_f32 v[80:81], v[30:31], v[80:81]                  // 00000000B13C: D3B14050 1802A11E
	v_pk_mul_f32 v[82:83], v[30:31], v[82:83]                  // 00000000B144: D3B14052 1802A51E
	v_pk_mul_f32 v[84:85], v[30:31], v[84:85]                  // 00000000B14C: D3B14054 1802A91E
	v_pk_mul_f32 v[86:87], v[30:31], v[86:87]                  // 00000000B154: D3B14056 1802AD1E
	v_pk_mul_f32 v[88:89], v[30:31], v[88:89]                  // 00000000B15C: D3B14058 1802B11E
	v_pk_mul_f32 v[90:91], v[30:31], v[90:91]                  // 00000000B164: D3B1405A 1802B51E
	v_pk_mul_f32 v[92:93], v[30:31], v[92:93]                  // 00000000B16C: D3B1405C 1802B91E
	v_pk_mul_f32 v[94:95], v[30:31], v[94:95]                  // 00000000B174: D3B1405E 1802BD1E
	v_pk_mul_f32 v[96:97], v[30:31], v[96:97]                  // 00000000B17C: D3B14060 1802C11E
	v_pk_mul_f32 v[98:99], v[30:31], v[98:99]                  // 00000000B184: D3B14062 1802C51E
	v_pk_mul_f32 v[100:101], v[30:31], v[100:101]              // 00000000B18C: D3B14064 1802C91E
	v_pk_mul_f32 v[102:103], v[30:31], v[102:103]              // 00000000B194: D3B14066 1802CD1E
	v_pk_mul_f32 v[104:105], v[30:31], v[104:105]              // 00000000B19C: D3B14068 1802D11E
	v_pk_mul_f32 v[106:107], v[30:31], v[106:107]              // 00000000B1A4: D3B1406A 1802D51E
	v_pk_mul_f32 v[108:109], v[30:31], v[108:109]              // 00000000B1AC: D3B1406C 1802D91E
	v_pk_mul_f32 v[110:111], v[30:31], v[110:111]              // 00000000B1B4: D3B1406E 1802DD1E
	v_pk_mul_f32 v[112:113], v[30:31], v[112:113]              // 00000000B1BC: D3B14070 1802E11E
	v_pk_mul_f32 v[114:115], v[30:31], v[114:115]              // 00000000B1C4: D3B14072 1802E51E
	v_pk_mul_f32 v[116:117], v[30:31], v[116:117]              // 00000000B1CC: D3B14074 1802E91E
	v_pk_mul_f32 v[118:119], v[30:31], v[118:119]              // 00000000B1D4: D3B14076 1802ED1E
	v_pk_mul_f32 v[120:121], v[30:31], v[120:121]              // 00000000B1DC: D3B14078 1802F11E
	v_pk_mul_f32 v[122:123], v[30:31], v[122:123]              // 00000000B1E4: D3B1407A 1802F51E
	v_pk_mul_f32 v[124:125], v[30:31], v[124:125]              // 00000000B1EC: D3B1407C 1802F91E
	v_pk_mul_f32 v[126:127], v[30:31], v[126:127]              // 00000000B1F4: D3B1407E 1802FD1E
	v_pk_mul_f32 v[128:129], v[30:31], v[128:129]              // 00000000B1FC: D3B14080 1803011E
	v_pk_mul_f32 v[130:131], v[30:31], v[130:131]              // 00000000B204: D3B14082 1803051E
	v_pk_mul_f32 v[132:133], v[30:31], v[132:133]              // 00000000B20C: D3B14084 1803091E
	v_pk_mul_f32 v[134:135], v[30:31], v[134:135]              // 00000000B214: D3B14086 18030D1E
	v_pk_mul_f32 v[136:137], v[30:31], v[136:137]              // 00000000B21C: D3B14088 1803111E
	v_pk_mul_f32 v[138:139], v[30:31], v[138:139]              // 00000000B224: D3B1408A 1803151E
	v_pk_mul_f32 v[140:141], v[30:31], v[140:141]              // 00000000B22C: D3B1408C 1803191E
	v_pk_mul_f32 v[142:143], v[30:31], v[142:143]              // 00000000B234: D3B1408E 18031D1E
	v_pk_mul_f32 v[144:145], v[30:31], v[144:145]              // 00000000B23C: D3B14090 1803211E
	v_pk_mul_f32 v[146:147], v[30:31], v[146:147]              // 00000000B244: D3B14092 1803251E
	v_pk_mul_f32 v[148:149], v[30:31], v[148:149]              // 00000000B24C: D3B14094 1803291E
	v_pk_mul_f32 v[150:151], v[30:31], v[150:151]              // 00000000B254: D3B14096 18032D1E
	v_pk_mul_f32 v[152:153], v[30:31], v[152:153]              // 00000000B25C: D3B14098 1803311E
	v_pk_mul_f32 v[154:155], v[30:31], v[154:155]              // 00000000B264: D3B1409A 1803351E
	v_pk_mul_f32 v[156:157], v[30:31], v[156:157]              // 00000000B26C: D3B1409C 1803391E
	v_pk_mul_f32 v[158:159], v[30:31], v[158:159]              // 00000000B274: D3B1409E 18033D1E
	v_pk_mul_f32 v[160:161], v[30:31], v[160:161]              // 00000000B27C: D3B140A0 1803411E
	v_pk_mul_f32 v[162:163], v[30:31], v[162:163]              // 00000000B284: D3B140A2 1803451E
	v_pk_mul_f32 v[164:165], v[30:31], v[164:165]              // 00000000B28C: D3B140A4 1803491E
	v_pk_mul_f32 v[166:167], v[30:31], v[166:167]              // 00000000B294: D3B140A6 18034D1E
	v_pk_mul_f32 v[168:169], v[30:31], v[168:169]              // 00000000B29C: D3B140A8 1803511E
	v_pk_mul_f32 v[170:171], v[30:31], v[170:171]              // 00000000B2A4: D3B140AA 1803551E
	v_pk_mul_f32 v[172:173], v[30:31], v[172:173]              // 00000000B2AC: D3B140AC 1803591E
	v_pk_mul_f32 v[174:175], v[30:31], v[174:175]              // 00000000B2B4: D3B140AE 18035D1E
	v_pk_mul_f32 v[176:177], v[30:31], v[176:177]              // 00000000B2BC: D3B140B0 1803611E
	s_waitcnt lgkmcnt(0)                                       // 00000000B2C4: BF8CC07F
	v_mfma_f32_16x16x32_bf16 v[50:53], a[144:147], v[34:37], v[50:53]// 00000000B2C8: D3B50032 0CCA4590
	v_mfma_f32_16x16x32_bf16 v[54:57], a[148:151], v[34:37], v[54:57]// 00000000B2D0: D3B50036 0CDA4594
	v_mfma_f32_16x16x32_bf16 v[58:61], a[152:155], v[34:37], v[58:61]// 00000000B2D8: D3B5003A 0CEA4598
	v_mfma_f32_16x16x32_bf16 v[62:65], a[156:159], v[34:37], v[62:65]// 00000000B2E0: D3B5003E 0CFA459C
	v_mfma_f32_16x16x32_bf16 v[66:69], a[160:163], v[34:37], v[66:69]// 00000000B2E8: D3B50042 0D0A45A0
	v_mfma_f32_16x16x32_bf16 v[70:73], a[164:167], v[34:37], v[70:73]// 00000000B2F0: D3B50046 0D1A45A4
	v_mfma_f32_16x16x32_bf16 v[74:77], a[168:171], v[34:37], v[74:77]// 00000000B2F8: D3B5004A 0D2A45A8
	v_mfma_f32_16x16x32_bf16 v[78:81], a[172:175], v[34:37], v[78:81]// 00000000B300: D3B5004E 0D3A45AC
	v_mfma_f32_16x16x32_bf16 v[82:85], a[176:179], v[34:37], v[82:85]// 00000000B308: D3B50052 0D4A45B0
	v_mfma_f32_16x16x32_bf16 v[86:89], a[180:183], v[34:37], v[86:89]// 00000000B310: D3B50056 0D5A45B4
	v_mfma_f32_16x16x32_bf16 v[90:93], a[184:187], v[34:37], v[90:93]// 00000000B318: D3B5005A 0D6A45B8
	ds_read_b64_tr_b16 a[144:145], v8 offset:8192              // 00000000B320: DBC62000 90000008
	ds_read_b64_tr_b16 a[146:147], v8 offset:8448              // 00000000B328: DBC62100 92000008
	ds_read_b64_tr_b16 a[148:149], v9 offset:8192              // 00000000B330: DBC62000 94000009
	ds_read_b64_tr_b16 a[150:151], v9 offset:8448              // 00000000B338: DBC62100 96000009
	v_mfma_f32_16x16x32_bf16 v[94:97], a[188:191], v[34:37], v[94:97]// 00000000B340: D3B5005E 0D7A45BC
	ds_read_b64_tr_b16 a[152:153], v8 offset:9216              // 00000000B348: DBC62400 98000008
	ds_read_b64_tr_b16 a[154:155], v8 offset:9472              // 00000000B350: DBC62500 9A000008
	ds_read_b64_tr_b16 a[156:157], v9 offset:9216              // 00000000B358: DBC62400 9C000009
	ds_read_b64_tr_b16 a[158:159], v9 offset:9472              // 00000000B360: DBC62500 9E000009
	v_mfma_f32_16x16x32_bf16 v[98:101], a[192:195], v[34:37], v[98:101]// 00000000B368: D3B50062 0D8A45C0
	ds_read_b64_tr_b16 a[160:161], v8 offset:10240             // 00000000B370: DBC62800 A0000008
	ds_read_b64_tr_b16 a[162:163], v8 offset:10496             // 00000000B378: DBC62900 A2000008
	ds_read_b64_tr_b16 a[164:165], v9 offset:10240             // 00000000B380: DBC62800 A4000009
	ds_read_b64_tr_b16 a[166:167], v9 offset:10496             // 00000000B388: DBC62900 A6000009
	v_mfma_f32_16x16x32_bf16 v[102:105], a[196:199], v[34:37], v[102:105]// 00000000B390: D3B50066 0D9A45C4
	ds_read_b64_tr_b16 a[168:169], v8 offset:11264             // 00000000B398: DBC62C00 A8000008
	ds_read_b64_tr_b16 a[170:171], v8 offset:11520             // 00000000B3A0: DBC62D00 AA000008
	ds_read_b64_tr_b16 a[172:173], v9 offset:11264             // 00000000B3A8: DBC62C00 AC000009
	ds_read_b64_tr_b16 a[174:175], v9 offset:11520             // 00000000B3B0: DBC62D00 AE000009
	v_mfma_f32_16x16x32_bf16 v[106:109], a[200:203], v[34:37], v[106:109]// 00000000B3B8: D3B5006A 0DAA45C8
	ds_read_b64_tr_b16 a[176:177], v8 offset:12288             // 00000000B3C0: DBC63000 B0000008
	ds_read_b64_tr_b16 a[178:179], v8 offset:12544             // 00000000B3C8: DBC63100 B2000008
	ds_read_b64_tr_b16 a[180:181], v9 offset:12288             // 00000000B3D0: DBC63000 B4000009
	ds_read_b64_tr_b16 a[182:183], v9 offset:12544             // 00000000B3D8: DBC63100 B6000009
	v_mfma_f32_16x16x32_bf16 v[110:113], a[204:207], v[34:37], v[110:113]// 00000000B3E0: D3B5006E 0DBA45CC
	ds_read_b64_tr_b16 a[184:185], v8 offset:13312             // 00000000B3E8: DBC63400 B8000008
	ds_read_b64_tr_b16 a[186:187], v8 offset:13568             // 00000000B3F0: DBC63500 BA000008
	ds_read_b64_tr_b16 a[188:189], v9 offset:13312             // 00000000B3F8: DBC63400 BC000009
	ds_read_b64_tr_b16 a[190:191], v9 offset:13568             // 00000000B400: DBC63500 BE000009
	ds_read_b64_tr_b16 a[192:193], v8 offset:14336             // 00000000B408: DBC63800 C0000008
	ds_read_b64_tr_b16 a[194:195], v8 offset:14592             // 00000000B410: DBC63900 C2000008
	ds_read_b64_tr_b16 a[196:197], v9 offset:14336             // 00000000B418: DBC63800 C4000009
	ds_read_b64_tr_b16 a[198:199], v9 offset:14592             // 00000000B420: DBC63900 C6000009
	ds_read_b64_tr_b16 a[200:201], v8 offset:15360             // 00000000B428: DBC63C00 C8000008
	ds_read_b64_tr_b16 a[202:203], v8 offset:15616             // 00000000B430: DBC63D00 CA000008
	ds_read_b64_tr_b16 a[204:205], v9 offset:15360             // 00000000B438: DBC63C00 CC000009
	ds_read_b64_tr_b16 a[206:207], v9 offset:15616             // 00000000B440: DBC63D00 CE000009
	s_waitcnt lgkmcnt(0)                                       // 00000000B448: BF8CC07F
	v_mfma_f32_16x16x32_bf16 v[114:117], a[144:147], v[34:37], v[114:117]// 00000000B44C: D3B50072 0DCA4590
	v_mfma_f32_16x16x32_bf16 v[118:121], a[148:151], v[34:37], v[118:121]// 00000000B454: D3B50076 0DDA4594
	v_mfma_f32_16x16x32_bf16 v[122:125], a[152:155], v[34:37], v[122:125]// 00000000B45C: D3B5007A 0DEA4598
	v_mfma_f32_16x16x32_bf16 v[126:129], a[156:159], v[34:37], v[126:129]// 00000000B464: D3B5007E 0DFA459C
	v_mfma_f32_16x16x32_bf16 v[130:133], a[160:163], v[34:37], v[130:133]// 00000000B46C: D3B50082 0E0A45A0
	v_mfma_f32_16x16x32_bf16 v[134:137], a[164:167], v[34:37], v[134:137]// 00000000B474: D3B50086 0E1A45A4
	v_mfma_f32_16x16x32_bf16 v[138:141], a[168:171], v[34:37], v[138:141]// 00000000B47C: D3B5008A 0E2A45A8
	v_mfma_f32_16x16x32_bf16 v[142:145], a[172:175], v[34:37], v[142:145]// 00000000B484: D3B5008E 0E3A45AC
	v_mfma_f32_16x16x32_bf16 v[146:149], a[176:179], v[34:37], v[146:149]// 00000000B48C: D3B50092 0E4A45B0
	v_mfma_f32_16x16x32_bf16 v[150:153], a[180:183], v[34:37], v[150:153]// 00000000B494: D3B50096 0E5A45B4
	v_mfma_f32_16x16x32_bf16 v[154:157], a[184:187], v[34:37], v[154:157]// 00000000B49C: D3B5009A 0E6A45B8
	v_mfma_f32_16x16x32_bf16 v[158:161], a[188:191], v[34:37], v[158:161]// 00000000B4A4: D3B5009E 0E7A45BC
	v_mfma_f32_16x16x32_bf16 v[162:165], a[192:195], v[34:37], v[162:165]// 00000000B4AC: D3B500A2 0E8A45C0
	v_mfma_f32_16x16x32_bf16 v[166:169], a[196:199], v[34:37], v[166:169]// 00000000B4B4: D3B500A6 0E9A45C4
	v_mfma_f32_16x16x32_bf16 v[170:173], a[200:203], v[34:37], v[170:173]// 00000000B4BC: D3B500AA 0EAA45C8
	v_mfma_f32_16x16x32_bf16 v[174:177], a[204:207], v[34:37], v[174:177]// 00000000B4C4: D3B500AE 0EBA45CC
	s_nop 8                                                    // 00000000B4CC: BF800008
	s_branch label_ACF4                                        // 00000000B4D0: BF8206C6

000000000000b4d4 <label_8FD4>:
	s_waitcnt lgkmcnt(0)                                       // 00000000B4D4: BF8CC07F
	v_mfma_f32_16x16x32_bf16 v[42:45], a[72:75], a[0:3], 0     // 00000000B4D8: D3B5002A 1A020148
	v_mfma_f32_16x16x32_bf16 v[42:45], a[76:79], a[4:7], v[42:45]// 00000000B4E0: D3B5002A 1CAA094C
	v_mfma_f32_16x16x32_bf16 v[42:45], a[80:83], a[8:11], v[42:45]// 00000000B4E8: D3B5002A 1CAA1150
	v_mfma_f32_16x16x32_bf16 v[42:45], a[84:87], a[12:15], v[42:45]// 00000000B4F0: D3B5002A 1CAA1954
	v_mfma_f32_16x16x32_bf16 v[42:45], a[88:91], a[16:19], v[42:45]// 00000000B4F8: D3B5002A 1CAA2158
	v_mfma_f32_16x16x32_bf16 v[42:45], a[92:95], a[20:23], v[42:45]// 00000000B500: D3B5002A 1CAA295C
	v_mfma_f32_16x16x32_bf16 v[42:45], a[96:99], a[24:27], v[42:45]// 00000000B508: D3B5002A 1CAA3160
	v_mfma_f32_16x16x32_bf16 v[42:45], a[100:103], a[28:31], v[42:45]// 00000000B510: D3B5002A 1CAA3964
	ds_read_b128 a[72:75], v19 offset:18432                    // 00000000B518: DBFE4800 48000013
	ds_read_b128 a[76:79], v19 offset:19456                    // 00000000B520: DBFE4C00 4C000013
	v_mfma_f32_16x16x32_bf16 v[42:45], a[104:107], a[32:35], v[42:45]// 00000000B528: D3B5002A 1CAA4168
	v_mfma_f32_16x16x32_bf16 v[42:45], a[108:111], a[36:39], v[42:45]// 00000000B530: D3B5002A 1CAA496C
	ds_read_b128 a[80:83], v19 offset:20480                    // 00000000B538: DBFE5000 50000013
	ds_read_b128 a[84:87], v19 offset:21504                    // 00000000B540: DBFE5400 54000013
	v_mfma_f32_16x16x32_bf16 v[42:45], a[112:115], a[40:43], v[42:45]// 00000000B548: D3B5002A 1CAA5170
	v_mfma_f32_16x16x32_bf16 v[42:45], a[116:119], a[44:47], v[42:45]// 00000000B550: D3B5002A 1CAA5974
	ds_read_b128 a[88:91], v19 offset:22528                    // 00000000B558: DBFE5800 58000013
	ds_read_b128 a[92:95], v19 offset:23552                    // 00000000B560: DBFE5C00 5C000013
	v_mfma_f32_16x16x32_bf16 v[42:45], a[120:123], a[48:51], v[42:45]// 00000000B568: D3B5002A 1CAA6178
	v_mfma_f32_16x16x32_bf16 v[42:45], a[124:127], a[52:55], v[42:45]// 00000000B570: D3B5002A 1CAA697C
	ds_read_b128 a[96:99], v19 offset:24576                    // 00000000B578: DBFE6000 60000013
	ds_read_b128 a[100:103], v19 offset:25600                  // 00000000B580: DBFE6400 64000013
	v_mfma_f32_16x16x32_bf16 v[42:45], a[128:131], a[56:59], v[42:45]// 00000000B588: D3B5002A 1CAA7180
	v_mfma_f32_16x16x32_bf16 v[42:45], a[132:135], a[60:63], v[42:45]// 00000000B590: D3B5002A 1CAA7984
	ds_read_b128 a[104:107], v19 offset:26624                  // 00000000B598: DBFE6800 68000013
	ds_read_b128 a[108:111], v19 offset:27648                  // 00000000B5A0: DBFE6C00 6C000013
	v_mfma_f32_16x16x32_bf16 v[42:45], a[136:139], a[64:67], v[42:45]// 00000000B5A8: D3B5002A 1CAA8188
	v_mfma_f32_16x16x32_bf16 v[42:45], a[140:143], a[68:71], v[42:45]// 00000000B5B0: D3B5002A 1CAA898C
	ds_read_b128 a[112:115], v19 offset:28672                  // 00000000B5B8: DBFE7000 70000013
	ds_read_b128 a[116:119], v19 offset:29696                  // 00000000B5C0: DBFE7400 74000013
	ds_read_b128 a[120:123], v19 offset:30720                  // 00000000B5C8: DBFE7800 78000013
	ds_read_b128 a[124:127], v19 offset:31744                  // 00000000B5D0: DBFE7C00 7C000013
	ds_read_b128 a[128:131], v19 offset:32768                  // 00000000B5D8: DBFE8000 80000013
	ds_read_b128 a[132:135], v19 offset:33792                  // 00000000B5E0: DBFE8400 84000013
	ds_read_b128 a[136:139], v19 offset:34816                  // 00000000B5E8: DBFE8800 88000013
	ds_read_b128 a[140:143], v19 offset:35840                  // 00000000B5F0: DBFE8C00 8C000013
	s_waitcnt lgkmcnt(0)                                       // 00000000B5F8: BF8CC07F
	v_mfma_f32_16x16x32_bf16 v[46:49], a[72:75], a[0:3], 0     // 00000000B5FC: D3B5002E 1A020148
	ds_read_b64_tr_b16 a[144:145], v10                         // 00000000B604: DBC60000 9000000A
	ds_read_b64_tr_b16 a[146:147], v10 offset:256              // 00000000B60C: DBC60100 9200000A
	ds_read_b64_tr_b16 a[148:149], v11                         // 00000000B614: DBC60000 9400000B
	ds_read_b64_tr_b16 a[150:151], v11 offset:256              // 00000000B61C: DBC60100 9600000B
	v_mfma_f32_16x16x32_bf16 v[46:49], a[76:79], a[4:7], v[46:49]// 00000000B624: D3B5002E 1CBA094C
	ds_read_b64_tr_b16 a[152:153], v10 offset:1024             // 00000000B62C: DBC60400 9800000A
	ds_read_b64_tr_b16 a[154:155], v10 offset:1280             // 00000000B634: DBC60500 9A00000A
	ds_read_b64_tr_b16 a[156:157], v11 offset:1024             // 00000000B63C: DBC60400 9C00000B
	ds_read_b64_tr_b16 a[158:159], v11 offset:1280             // 00000000B644: DBC60500 9E00000B
	v_mfma_f32_16x16x32_bf16 v[46:49], a[80:83], a[8:11], v[46:49]// 00000000B64C: D3B5002E 1CBA1150
	ds_read_b64_tr_b16 a[160:161], v10 offset:2048             // 00000000B654: DBC60800 A000000A
	ds_read_b64_tr_b16 a[162:163], v10 offset:2304             // 00000000B65C: DBC60900 A200000A
	ds_read_b64_tr_b16 a[164:165], v11 offset:2048             // 00000000B664: DBC60800 A400000B
	ds_read_b64_tr_b16 a[166:167], v11 offset:2304             // 00000000B66C: DBC60900 A600000B
	v_mfma_f32_16x16x32_bf16 v[46:49], a[84:87], a[12:15], v[46:49]// 00000000B674: D3B5002E 1CBA1954
	ds_read_b64_tr_b16 a[168:169], v10 offset:3072             // 00000000B67C: DBC60C00 A800000A
	ds_read_b64_tr_b16 a[170:171], v10 offset:3328             // 00000000B684: DBC60D00 AA00000A
	ds_read_b64_tr_b16 a[172:173], v11 offset:3072             // 00000000B68C: DBC60C00 AC00000B
	ds_read_b64_tr_b16 a[174:175], v11 offset:3328             // 00000000B694: DBC60D00 AE00000B
	v_mfma_f32_16x16x32_bf16 v[46:49], a[88:91], a[16:19], v[46:49]// 00000000B69C: D3B5002E 1CBA2158
	ds_read_b64_tr_b16 a[176:177], v10 offset:4096             // 00000000B6A4: DBC61000 B000000A
	ds_read_b64_tr_b16 a[178:179], v10 offset:4352             // 00000000B6AC: DBC61100 B200000A
	ds_read_b64_tr_b16 a[180:181], v11 offset:4096             // 00000000B6B4: DBC61000 B400000B
	ds_read_b64_tr_b16 a[182:183], v11 offset:4352             // 00000000B6BC: DBC61100 B600000B
	v_mfma_f32_16x16x32_bf16 v[46:49], a[92:95], a[20:23], v[46:49]// 00000000B6C4: D3B5002E 1CBA295C
	ds_read_b64_tr_b16 a[184:185], v10 offset:5120             // 00000000B6CC: DBC61400 B800000A
	ds_read_b64_tr_b16 a[186:187], v10 offset:5376             // 00000000B6D4: DBC61500 BA00000A
	ds_read_b64_tr_b16 a[188:189], v11 offset:5120             // 00000000B6DC: DBC61400 BC00000B
	ds_read_b64_tr_b16 a[190:191], v11 offset:5376             // 00000000B6E4: DBC61500 BE00000B
	v_mfma_f32_16x16x32_bf16 v[46:49], a[96:99], a[24:27], v[46:49]// 00000000B6EC: D3B5002E 1CBA3160
	ds_read_b64_tr_b16 a[192:193], v10 offset:6144             // 00000000B6F4: DBC61800 C000000A
	ds_read_b64_tr_b16 a[194:195], v10 offset:6400             // 00000000B6FC: DBC61900 C200000A
	ds_read_b64_tr_b16 a[196:197], v11 offset:6144             // 00000000B704: DBC61800 C400000B
	ds_read_b64_tr_b16 a[198:199], v11 offset:6400             // 00000000B70C: DBC61900 C600000B
	v_mfma_f32_16x16x32_bf16 v[46:49], a[100:103], a[28:31], v[46:49]// 00000000B714: D3B5002E 1CBA3964
	ds_read_b64_tr_b16 a[200:201], v10 offset:7168             // 00000000B71C: DBC61C00 C800000A
	ds_read_b64_tr_b16 a[202:203], v10 offset:7424             // 00000000B724: DBC61D00 CA00000A
	ds_read_b64_tr_b16 a[204:205], v11 offset:7168             // 00000000B72C: DBC61C00 CC00000B
	ds_read_b64_tr_b16 a[206:207], v11 offset:7424             // 00000000B734: DBC61D00 CE00000B
	v_mfma_f32_16x16x32_bf16 v[46:49], a[104:107], a[32:35], v[46:49]// 00000000B73C: D3B5002E 1CBA4168
	v_mfma_f32_16x16x32_bf16 v[46:49], a[108:111], a[36:39], v[46:49]// 00000000B744: D3B5002E 1CBA496C
	v_mfma_f32_16x16x32_bf16 v[46:49], a[112:115], a[40:43], v[46:49]// 00000000B74C: D3B5002E 1CBA5170
	v_mfma_f32_16x16x32_bf16 v[46:49], a[116:119], a[44:47], v[46:49]// 00000000B754: D3B5002E 1CBA5974
	v_mfma_f32_16x16x32_bf16 v[46:49], a[120:123], a[48:51], v[46:49]// 00000000B75C: D3B5002E 1CBA6178
	v_mfma_f32_16x16x32_bf16 v[46:49], a[124:127], a[52:55], v[46:49]// 00000000B764: D3B5002E 1CBA697C
	v_mfma_f32_16x16x32_bf16 v[46:49], a[128:131], a[56:59], v[46:49]// 00000000B76C: D3B5002E 1CBA7180
	v_mfma_f32_16x16x32_bf16 v[46:49], a[132:135], a[60:63], v[46:49]// 00000000B774: D3B5002E 1CBA7984
	v_mfma_f32_16x16x32_bf16 v[46:49], a[136:139], a[64:67], v[46:49]// 00000000B77C: D3B5002E 1CBA8188
	v_mfma_f32_16x16x32_bf16 v[46:49], a[140:143], a[68:71], v[46:49]// 00000000B784: D3B5002E 1CBA898C
	s_nop 8                                                    // 00000000B78C: BF800008
	s_and_b32 s56, s48, 0xff                                   // 00000000B790: 8638FF30 000000FF
	v_mov_b32_e32 v29, s56                                     // 00000000B798: 7E3A0238
	v_lshrrev_b32_e32 v18, 4, v0                               // 00000000B79C: 20240084
	v_mul_i32_i24_e32 v18, 4, v18                              // 00000000B7A0: 0C242484
	v_add_u32_e32 v19, 1, v18                                  // 00000000B7A4: 68262481
	v_add_u32_e32 v20, 2, v18                                  // 00000000B7A8: 68282482
	v_add_u32_e32 v21, 3, v18                                  // 00000000B7AC: 682A2483
	v_mov_b32_e32 v28, 0xff800000                              // 00000000B7B0: 7E3802FF FF800000
	v_cmp_lt_u32_e64 s[36:37], v18, v29                        // 00000000B7B8: D0C90024 00023B12
	v_add_u32_e32 v18, 16, v18                                 // 00000000B7C0: 68242490
	s_nop 0                                                    // 00000000B7C4: BF800000
	v_cndmask_b32_e64 v42, v28, v42, s[36:37]                  // 00000000B7C8: D100002A 0092551C
	v_cmp_lt_u32_e64 s[36:37], v19, v29                        // 00000000B7D0: D0C90024 00023B13
	v_add_u32_e32 v19, 16, v19                                 // 00000000B7D8: 68262690
	s_nop 0                                                    // 00000000B7DC: BF800000
	v_cndmask_b32_e64 v43, v28, v43, s[36:37]                  // 00000000B7E0: D100002B 0092571C
	v_cmp_lt_u32_e64 s[36:37], v20, v29                        // 00000000B7E8: D0C90024 00023B14
	v_add_u32_e32 v20, 16, v20                                 // 00000000B7F0: 68282890
	s_nop 0                                                    // 00000000B7F4: BF800000
	v_cndmask_b32_e64 v44, v28, v44, s[36:37]                  // 00000000B7F8: D100002C 0092591C
	v_cmp_lt_u32_e64 s[36:37], v21, v29                        // 00000000B800: D0C90024 00023B15
	v_add_u32_e32 v21, 16, v21                                 // 00000000B808: 682A2A90
	s_nop 0                                                    // 00000000B80C: BF800000
	v_cndmask_b32_e64 v45, v28, v45, s[36:37]                  // 00000000B810: D100002D 00925B1C
	v_cmp_lt_u32_e64 s[36:37], v18, v29                        // 00000000B818: D0C90024 00023B12
	v_add_u32_e32 v18, 16, v18                                 // 00000000B820: 68242490
	s_nop 0                                                    // 00000000B824: BF800000
	v_cndmask_b32_e64 v46, v28, v46, s[36:37]                  // 00000000B828: D100002E 00925D1C
	v_cmp_lt_u32_e64 s[36:37], v19, v29                        // 00000000B830: D0C90024 00023B13
	v_add_u32_e32 v19, 16, v19                                 // 00000000B838: 68262690
	s_nop 0                                                    // 00000000B83C: BF800000
	v_cndmask_b32_e64 v47, v28, v47, s[36:37]                  // 00000000B840: D100002F 00925F1C
	v_cmp_lt_u32_e64 s[36:37], v20, v29                        // 00000000B848: D0C90024 00023B14
	v_add_u32_e32 v20, 16, v20                                 // 00000000B850: 68282890
	s_nop 0                                                    // 00000000B854: BF800000
	v_cndmask_b32_e64 v48, v28, v48, s[36:37]                  // 00000000B858: D1000030 0092611C
	v_cmp_lt_u32_e64 s[36:37], v21, v29                        // 00000000B860: D0C90024 00023B15
	v_add_u32_e32 v21, 16, v21                                 // 00000000B868: 682A2A90
	s_nop 0                                                    // 00000000B86C: BF800000
	v_cndmask_b32_e64 v49, v28, v49, s[36:37]                  // 00000000B870: D1000031 0092631C
	s_nop 2                                                    // 00000000B878: BF800002
	v_mov_b32_e32 v29, v42                                     // 00000000B87C: 7E3A032A
	v_max3_f32 v29, v42, v43, v29                              // 00000000B880: D1D3001D 0476572A
	v_max3_f32 v29, v44, v45, v29                              // 00000000B888: D1D3001D 04765B2C
	v_max3_f32 v29, v46, v47, v29                              // 00000000B890: D1D3001D 04765F2E
	v_max3_f32 v29, v48, v49, v29                              // 00000000B898: D1D3001D 04766330
	v_mov_b32_e32 v28, v29                                     // 00000000B8A0: 7E38031D
	v_mov_b32_e32 v29, v29                                     // 00000000B8A4: 7E3A031D
	s_nop 1                                                    // 00000000B8A8: BF800001
	v_permlane16_swap_b32_e32 v28, v29                         // 00000000B8AC: 7E38B31D
	v_mov_b32_e32 v31, v28                                     // 00000000B8B0: 7E3E031C
	v_mov_b32_e32 v30, v29                                     // 00000000B8B4: 7E3C031D
	s_nop 1                                                    // 00000000B8B8: BF800001
	v_permlane32_swap_b32_e32 v28, v29                         // 00000000B8BC: 7E38B51D
	v_permlane32_swap_b32_e32 v30, v31                         // 00000000B8C0: 7E3CB51F
	v_max3_f32 v29, v28, v29, v29                              // 00000000B8C4: D1D3001D 04763B1C
	v_max3_f32 v29, v30, v31, v29                              // 00000000B8CC: D1D3001D 04763F1E
	v_mov_b32_e32 v28, 0xff800000                              // 00000000B8D4: 7E3802FF FF800000
	v_cmp_eq_u32_e64 s[36:37], v28, v2                         // 00000000B8DC: D0CA0024 0002051C
	v_max_f32_e32 v29, v29, v2                                 // 00000000B8E4: 163A051D
	v_sub_f32_e32 v16, v2, v29                                 // 00000000B8E8: 04203B02
	v_cndmask_b32_e64 v16, v16, 0, s[36:37]                    // 00000000B8EC: D1000010 00910110
	v_mov_b32_e32 v2, v29                                      // 00000000B8F4: 7E04031D
	v_mul_f32_e32 v29, s5, v29                                 // 00000000B8F8: 0A3A3A05
	v_mul_f32_e32 v16, s5, v16                                 // 00000000B8FC: 0A202005
	v_exp_f32_e32 v16, v16                                     // 00000000B900: 7E204110
	v_fma_f32 v42, v42, s5, -v29                               // 00000000B904: D1CB002A 84740B2A
	v_fma_f32 v43, v43, s5, -v29                               // 00000000B90C: D1CB002B 84740B2B
	v_fma_f32 v44, v44, s5, -v29                               // 00000000B914: D1CB002C 84740B2C
	v_fma_f32 v45, v45, s5, -v29                               // 00000000B91C: D1CB002D 84740B2D
	v_fma_f32 v46, v46, s5, -v29                               // 00000000B924: D1CB002E 84740B2E
	v_fma_f32 v47, v47, s5, -v29                               // 00000000B92C: D1CB002F 84740B2F
	v_fma_f32 v48, v48, s5, -v29                               // 00000000B934: D1CB0030 84740B30
	v_fma_f32 v49, v49, s5, -v29                               // 00000000B93C: D1CB0031 84740B31
	v_exp_f32_e32 v42, v42                                     // 00000000B944: 7E54412A
	v_exp_f32_e32 v43, v43                                     // 00000000B948: 7E56412B
	v_exp_f32_e32 v44, v44                                     // 00000000B94C: 7E58412C
	v_exp_f32_e32 v45, v45                                     // 00000000B950: 7E5A412D
	v_exp_f32_e32 v46, v46                                     // 00000000B954: 7E5C412E
	v_exp_f32_e32 v47, v47                                     // 00000000B958: 7E5E412F
	v_exp_f32_e32 v48, v48                                     // 00000000B95C: 7E604130
	v_exp_f32_e32 v49, v49                                     // 00000000B960: 7E624131
	v_mul_f32_e32 v4, v16, v4                                  // 00000000B964: 0A080910
	v_mov_b32_e32 v28, v42                                     // 00000000B968: 7E38032A
	v_add_f32_e32 v28, v43, v28                                // 00000000B96C: 0238392B
	v_add_f32_e32 v28, v44, v28                                // 00000000B970: 0238392C
	v_add_f32_e32 v28, v45, v28                                // 00000000B974: 0238392D
	v_add_f32_e32 v28, v46, v28                                // 00000000B978: 0238392E
	v_add_f32_e32 v28, v47, v28                                // 00000000B97C: 0238392F
	v_add_f32_e32 v28, v48, v28                                // 00000000B980: 02383930
	v_add_f32_e32 v28, v49, v28                                // 00000000B984: 02383931
	v_add_f32_e32 v4, v28, v4                                  // 00000000B988: 0208091C
	v_cvt_pk_bf16_f32 v42, v42, v43                            // 00000000B98C: D268002A 0002572A
	v_cvt_pk_bf16_f32 v43, v44, v45                            // 00000000B994: D268002B 00025B2C
	v_cvt_pk_bf16_f32 v44, v46, v47                            // 00000000B99C: D268002C 00025F2E
	v_cvt_pk_bf16_f32 v45, v48, v49                            // 00000000B9A4: D268002D 00026330
	s_nop 0                                                    // 00000000B9AC: BF800000
	v_permlane32_swap_b32_e32 v42, v44                         // 00000000B9B0: 7E54B52C
	v_permlane32_swap_b32_e32 v43, v45                         // 00000000B9B4: 7E56B52D
	s_nop 0                                                    // 00000000B9B8: BF800000
	v_permlane16_swap_b32_e32 v42, v44                         // 00000000B9BC: 7E54B32C
	v_permlane16_swap_b32_e32 v43, v45                         // 00000000B9C0: 7E56B32D
	v_mov_b32_e32 v30, v16                                     // 00000000B9C4: 7E3C0310
	v_mov_b32_e32 v31, v16                                     // 00000000B9C8: 7E3E0310
	v_pk_mul_f32 v[50:51], v[30:31], v[50:51]                  // 00000000B9CC: D3B14032 1802651E
	v_pk_mul_f32 v[52:53], v[30:31], v[52:53]                  // 00000000B9D4: D3B14034 1802691E
	v_pk_mul_f32 v[54:55], v[30:31], v[54:55]                  // 00000000B9DC: D3B14036 18026D1E
	v_pk_mul_f32 v[56:57], v[30:31], v[56:57]                  // 00000000B9E4: D3B14038 1802711E
	v_pk_mul_f32 v[58:59], v[30:31], v[58:59]                  // 00000000B9EC: D3B1403A 1802751E
	v_pk_mul_f32 v[60:61], v[30:31], v[60:61]                  // 00000000B9F4: D3B1403C 1802791E
	v_pk_mul_f32 v[62:63], v[30:31], v[62:63]                  // 00000000B9FC: D3B1403E 18027D1E
	v_pk_mul_f32 v[64:65], v[30:31], v[64:65]                  // 00000000BA04: D3B14040 1802811E
	v_pk_mul_f32 v[66:67], v[30:31], v[66:67]                  // 00000000BA0C: D3B14042 1802851E
	v_pk_mul_f32 v[68:69], v[30:31], v[68:69]                  // 00000000BA14: D3B14044 1802891E
	v_pk_mul_f32 v[70:71], v[30:31], v[70:71]                  // 00000000BA1C: D3B14046 18028D1E
	v_pk_mul_f32 v[72:73], v[30:31], v[72:73]                  // 00000000BA24: D3B14048 1802911E
	v_pk_mul_f32 v[74:75], v[30:31], v[74:75]                  // 00000000BA2C: D3B1404A 1802951E
	v_pk_mul_f32 v[76:77], v[30:31], v[76:77]                  // 00000000BA34: D3B1404C 1802991E
	v_pk_mul_f32 v[78:79], v[30:31], v[78:79]                  // 00000000BA3C: D3B1404E 18029D1E
	v_pk_mul_f32 v[80:81], v[30:31], v[80:81]                  // 00000000BA44: D3B14050 1802A11E
	v_pk_mul_f32 v[82:83], v[30:31], v[82:83]                  // 00000000BA4C: D3B14052 1802A51E
	v_pk_mul_f32 v[84:85], v[30:31], v[84:85]                  // 00000000BA54: D3B14054 1802A91E
	v_pk_mul_f32 v[86:87], v[30:31], v[86:87]                  // 00000000BA5C: D3B14056 1802AD1E
	v_pk_mul_f32 v[88:89], v[30:31], v[88:89]                  // 00000000BA64: D3B14058 1802B11E
	v_pk_mul_f32 v[90:91], v[30:31], v[90:91]                  // 00000000BA6C: D3B1405A 1802B51E
	v_pk_mul_f32 v[92:93], v[30:31], v[92:93]                  // 00000000BA74: D3B1405C 1802B91E
	v_pk_mul_f32 v[94:95], v[30:31], v[94:95]                  // 00000000BA7C: D3B1405E 1802BD1E
	v_pk_mul_f32 v[96:97], v[30:31], v[96:97]                  // 00000000BA84: D3B14060 1802C11E
	v_pk_mul_f32 v[98:99], v[30:31], v[98:99]                  // 00000000BA8C: D3B14062 1802C51E
	v_pk_mul_f32 v[100:101], v[30:31], v[100:101]              // 00000000BA94: D3B14064 1802C91E
	v_pk_mul_f32 v[102:103], v[30:31], v[102:103]              // 00000000BA9C: D3B14066 1802CD1E
	v_pk_mul_f32 v[104:105], v[30:31], v[104:105]              // 00000000BAA4: D3B14068 1802D11E
	v_pk_mul_f32 v[106:107], v[30:31], v[106:107]              // 00000000BAAC: D3B1406A 1802D51E
	v_pk_mul_f32 v[108:109], v[30:31], v[108:109]              // 00000000BAB4: D3B1406C 1802D91E
	v_pk_mul_f32 v[110:111], v[30:31], v[110:111]              // 00000000BABC: D3B1406E 1802DD1E
	v_pk_mul_f32 v[112:113], v[30:31], v[112:113]              // 00000000BAC4: D3B14070 1802E11E
	v_pk_mul_f32 v[114:115], v[30:31], v[114:115]              // 00000000BACC: D3B14072 1802E51E
	v_pk_mul_f32 v[116:117], v[30:31], v[116:117]              // 00000000BAD4: D3B14074 1802E91E
	v_pk_mul_f32 v[118:119], v[30:31], v[118:119]              // 00000000BADC: D3B14076 1802ED1E
	v_pk_mul_f32 v[120:121], v[30:31], v[120:121]              // 00000000BAE4: D3B14078 1802F11E
	v_pk_mul_f32 v[122:123], v[30:31], v[122:123]              // 00000000BAEC: D3B1407A 1802F51E
	v_pk_mul_f32 v[124:125], v[30:31], v[124:125]              // 00000000BAF4: D3B1407C 1802F91E
	v_pk_mul_f32 v[126:127], v[30:31], v[126:127]              // 00000000BAFC: D3B1407E 1802FD1E
	v_pk_mul_f32 v[128:129], v[30:31], v[128:129]              // 00000000BB04: D3B14080 1803011E
	v_pk_mul_f32 v[130:131], v[30:31], v[130:131]              // 00000000BB0C: D3B14082 1803051E
	v_pk_mul_f32 v[132:133], v[30:31], v[132:133]              // 00000000BB14: D3B14084 1803091E
	v_pk_mul_f32 v[134:135], v[30:31], v[134:135]              // 00000000BB1C: D3B14086 18030D1E
	v_pk_mul_f32 v[136:137], v[30:31], v[136:137]              // 00000000BB24: D3B14088 1803111E
	v_pk_mul_f32 v[138:139], v[30:31], v[138:139]              // 00000000BB2C: D3B1408A 1803151E
	v_pk_mul_f32 v[140:141], v[30:31], v[140:141]              // 00000000BB34: D3B1408C 1803191E
	v_pk_mul_f32 v[142:143], v[30:31], v[142:143]              // 00000000BB3C: D3B1408E 18031D1E
	v_pk_mul_f32 v[144:145], v[30:31], v[144:145]              // 00000000BB44: D3B14090 1803211E
	v_pk_mul_f32 v[146:147], v[30:31], v[146:147]              // 00000000BB4C: D3B14092 1803251E
	v_pk_mul_f32 v[148:149], v[30:31], v[148:149]              // 00000000BB54: D3B14094 1803291E
	v_pk_mul_f32 v[150:151], v[30:31], v[150:151]              // 00000000BB5C: D3B14096 18032D1E
	v_pk_mul_f32 v[152:153], v[30:31], v[152:153]              // 00000000BB64: D3B14098 1803311E
	v_pk_mul_f32 v[154:155], v[30:31], v[154:155]              // 00000000BB6C: D3B1409A 1803351E
	v_pk_mul_f32 v[156:157], v[30:31], v[156:157]              // 00000000BB74: D3B1409C 1803391E
	v_pk_mul_f32 v[158:159], v[30:31], v[158:159]              // 00000000BB7C: D3B1409E 18033D1E
	v_pk_mul_f32 v[160:161], v[30:31], v[160:161]              // 00000000BB84: D3B140A0 1803411E
	v_pk_mul_f32 v[162:163], v[30:31], v[162:163]              // 00000000BB8C: D3B140A2 1803451E
	v_pk_mul_f32 v[164:165], v[30:31], v[164:165]              // 00000000BB94: D3B140A4 1803491E
	v_pk_mul_f32 v[166:167], v[30:31], v[166:167]              // 00000000BB9C: D3B140A6 18034D1E
	v_pk_mul_f32 v[168:169], v[30:31], v[168:169]              // 00000000BBA4: D3B140A8 1803511E
	v_pk_mul_f32 v[170:171], v[30:31], v[170:171]              // 00000000BBAC: D3B140AA 1803551E
	v_pk_mul_f32 v[172:173], v[30:31], v[172:173]              // 00000000BBB4: D3B140AC 1803591E
	v_pk_mul_f32 v[174:175], v[30:31], v[174:175]              // 00000000BBBC: D3B140AE 18035D1E
	v_pk_mul_f32 v[176:177], v[30:31], v[176:177]              // 00000000BBC4: D3B140B0 1803611E
	s_waitcnt lgkmcnt(0)                                       // 00000000BBCC: BF8CC07F
	v_mfma_f32_16x16x32_bf16 v[50:53], a[144:147], v[42:45], v[50:53]// 00000000BBD0: D3B50032 0CCA5590
	v_mfma_f32_16x16x32_bf16 v[54:57], a[148:151], v[42:45], v[54:57]// 00000000BBD8: D3B50036 0CDA5594
	v_mfma_f32_16x16x32_bf16 v[58:61], a[152:155], v[42:45], v[58:61]// 00000000BBE0: D3B5003A 0CEA5598
	v_mfma_f32_16x16x32_bf16 v[62:65], a[156:159], v[42:45], v[62:65]// 00000000BBE8: D3B5003E 0CFA559C
	v_mfma_f32_16x16x32_bf16 v[66:69], a[160:163], v[42:45], v[66:69]// 00000000BBF0: D3B50042 0D0A55A0
	v_mfma_f32_16x16x32_bf16 v[70:73], a[164:167], v[42:45], v[70:73]// 00000000BBF8: D3B50046 0D1A55A4
	v_mfma_f32_16x16x32_bf16 v[74:77], a[168:171], v[42:45], v[74:77]// 00000000BC00: D3B5004A 0D2A55A8
	v_mfma_f32_16x16x32_bf16 v[78:81], a[172:175], v[42:45], v[78:81]// 00000000BC08: D3B5004E 0D3A55AC
	v_mfma_f32_16x16x32_bf16 v[82:85], a[176:179], v[42:45], v[82:85]// 00000000BC10: D3B50052 0D4A55B0
	v_mfma_f32_16x16x32_bf16 v[86:89], a[180:183], v[42:45], v[86:89]// 00000000BC18: D3B50056 0D5A55B4
	v_mfma_f32_16x16x32_bf16 v[90:93], a[184:187], v[42:45], v[90:93]// 00000000BC20: D3B5005A 0D6A55B8
	ds_read_b64_tr_b16 a[144:145], v10 offset:8192             // 00000000BC28: DBC62000 9000000A
	ds_read_b64_tr_b16 a[146:147], v10 offset:8448             // 00000000BC30: DBC62100 9200000A
	ds_read_b64_tr_b16 a[148:149], v11 offset:8192             // 00000000BC38: DBC62000 9400000B
	ds_read_b64_tr_b16 a[150:151], v11 offset:8448             // 00000000BC40: DBC62100 9600000B
	v_mfma_f32_16x16x32_bf16 v[94:97], a[188:191], v[42:45], v[94:97]// 00000000BC48: D3B5005E 0D7A55BC
	ds_read_b64_tr_b16 a[152:153], v10 offset:9216             // 00000000BC50: DBC62400 9800000A
	ds_read_b64_tr_b16 a[154:155], v10 offset:9472             // 00000000BC58: DBC62500 9A00000A
	ds_read_b64_tr_b16 a[156:157], v11 offset:9216             // 00000000BC60: DBC62400 9C00000B
	ds_read_b64_tr_b16 a[158:159], v11 offset:9472             // 00000000BC68: DBC62500 9E00000B
	v_mfma_f32_16x16x32_bf16 v[98:101], a[192:195], v[42:45], v[98:101]// 00000000BC70: D3B50062 0D8A55C0
	ds_read_b64_tr_b16 a[160:161], v10 offset:10240            // 00000000BC78: DBC62800 A000000A
	ds_read_b64_tr_b16 a[162:163], v10 offset:10496            // 00000000BC80: DBC62900 A200000A
	ds_read_b64_tr_b16 a[164:165], v11 offset:10240            // 00000000BC88: DBC62800 A400000B
	ds_read_b64_tr_b16 a[166:167], v11 offset:10496            // 00000000BC90: DBC62900 A600000B
	v_mfma_f32_16x16x32_bf16 v[102:105], a[196:199], v[42:45], v[102:105]// 00000000BC98: D3B50066 0D9A55C4
	ds_read_b64_tr_b16 a[168:169], v10 offset:11264            // 00000000BCA0: DBC62C00 A800000A
	ds_read_b64_tr_b16 a[170:171], v10 offset:11520            // 00000000BCA8: DBC62D00 AA00000A
	ds_read_b64_tr_b16 a[172:173], v11 offset:11264            // 00000000BCB0: DBC62C00 AC00000B
	ds_read_b64_tr_b16 a[174:175], v11 offset:11520            // 00000000BCB8: DBC62D00 AE00000B
	v_mfma_f32_16x16x32_bf16 v[106:109], a[200:203], v[42:45], v[106:109]// 00000000BCC0: D3B5006A 0DAA55C8
	ds_read_b64_tr_b16 a[176:177], v10 offset:12288            // 00000000BCC8: DBC63000 B000000A
	ds_read_b64_tr_b16 a[178:179], v10 offset:12544            // 00000000BCD0: DBC63100 B200000A
	ds_read_b64_tr_b16 a[180:181], v11 offset:12288            // 00000000BCD8: DBC63000 B400000B
	ds_read_b64_tr_b16 a[182:183], v11 offset:12544            // 00000000BCE0: DBC63100 B600000B
	v_mfma_f32_16x16x32_bf16 v[110:113], a[204:207], v[42:45], v[110:113]// 00000000BCE8: D3B5006E 0DBA55CC
	ds_read_b64_tr_b16 a[184:185], v10 offset:13312            // 00000000BCF0: DBC63400 B800000A
	ds_read_b64_tr_b16 a[186:187], v10 offset:13568            // 00000000BCF8: DBC63500 BA00000A
	ds_read_b64_tr_b16 a[188:189], v11 offset:13312            // 00000000BD00: DBC63400 BC00000B
	ds_read_b64_tr_b16 a[190:191], v11 offset:13568            // 00000000BD08: DBC63500 BE00000B
	ds_read_b64_tr_b16 a[192:193], v10 offset:14336            // 00000000BD10: DBC63800 C000000A
	ds_read_b64_tr_b16 a[194:195], v10 offset:14592            // 00000000BD18: DBC63900 C200000A
	ds_read_b64_tr_b16 a[196:197], v11 offset:14336            // 00000000BD20: DBC63800 C400000B
	ds_read_b64_tr_b16 a[198:199], v11 offset:14592            // 00000000BD28: DBC63900 C600000B
	ds_read_b64_tr_b16 a[200:201], v10 offset:15360            // 00000000BD30: DBC63C00 C800000A
	ds_read_b64_tr_b16 a[202:203], v10 offset:15616            // 00000000BD38: DBC63D00 CA00000A
	ds_read_b64_tr_b16 a[204:205], v11 offset:15360            // 00000000BD40: DBC63C00 CC00000B
	ds_read_b64_tr_b16 a[206:207], v11 offset:15616            // 00000000BD48: DBC63D00 CE00000B
	s_waitcnt lgkmcnt(0)                                       // 00000000BD50: BF8CC07F
	v_mfma_f32_16x16x32_bf16 v[114:117], a[144:147], v[42:45], v[114:117]// 00000000BD54: D3B50072 0DCA5590
	v_mfma_f32_16x16x32_bf16 v[118:121], a[148:151], v[42:45], v[118:121]// 00000000BD5C: D3B50076 0DDA5594
	v_mfma_f32_16x16x32_bf16 v[122:125], a[152:155], v[42:45], v[122:125]// 00000000BD64: D3B5007A 0DEA5598
	v_mfma_f32_16x16x32_bf16 v[126:129], a[156:159], v[42:45], v[126:129]// 00000000BD6C: D3B5007E 0DFA559C
	v_mfma_f32_16x16x32_bf16 v[130:133], a[160:163], v[42:45], v[130:133]// 00000000BD74: D3B50082 0E0A55A0
	v_mfma_f32_16x16x32_bf16 v[134:137], a[164:167], v[42:45], v[134:137]// 00000000BD7C: D3B50086 0E1A55A4
	v_mfma_f32_16x16x32_bf16 v[138:141], a[168:171], v[42:45], v[138:141]// 00000000BD84: D3B5008A 0E2A55A8
	v_mfma_f32_16x16x32_bf16 v[142:145], a[172:175], v[42:45], v[142:145]// 00000000BD8C: D3B5008E 0E3A55AC
	v_mfma_f32_16x16x32_bf16 v[146:149], a[176:179], v[42:45], v[146:149]// 00000000BD94: D3B50092 0E4A55B0
	v_mfma_f32_16x16x32_bf16 v[150:153], a[180:183], v[42:45], v[150:153]// 00000000BD9C: D3B50096 0E5A55B4
	v_mfma_f32_16x16x32_bf16 v[154:157], a[184:187], v[42:45], v[154:157]// 00000000BDA4: D3B5009A 0E6A55B8
	v_mfma_f32_16x16x32_bf16 v[158:161], a[188:191], v[42:45], v[158:161]// 00000000BDAC: D3B5009E 0E7A55BC
	v_mfma_f32_16x16x32_bf16 v[162:165], a[192:195], v[42:45], v[162:165]// 00000000BDB4: D3B500A2 0E8A55C0
	v_mfma_f32_16x16x32_bf16 v[166:169], a[196:199], v[42:45], v[166:169]// 00000000BDBC: D3B500A6 0E9A55C4
	v_mfma_f32_16x16x32_bf16 v[170:173], a[200:203], v[42:45], v[170:173]// 00000000BDC4: D3B500AA 0EAA55C8
	v_mfma_f32_16x16x32_bf16 v[174:177], a[204:207], v[42:45], v[174:177]// 00000000BDCC: D3B500AE 0EBA55CC
	s_nop 8                                                    // 00000000BDD4: BF800008
	s_branch label_ACF4                                        // 00000000BDD8: BF820484

000000000000bddc <label_98DC>:
	s_waitcnt lgkmcnt(0)                                       // 00000000BDDC: BF8CC07F
	v_mfma_f32_16x16x32_bf16 v[34:37], a[72:75], a[0:3], 0     // 00000000BDE0: D3B50022 1A020148
	v_mfma_f32_16x16x32_bf16 v[34:37], a[76:79], a[4:7], v[34:37]// 00000000BDE8: D3B50022 1C8A094C
	v_mfma_f32_16x16x32_bf16 v[34:37], a[80:83], a[8:11], v[34:37]// 00000000BDF0: D3B50022 1C8A1150
	v_mfma_f32_16x16x32_bf16 v[34:37], a[84:87], a[12:15], v[34:37]// 00000000BDF8: D3B50022 1C8A1954
	v_mfma_f32_16x16x32_bf16 v[34:37], a[88:91], a[16:19], v[34:37]// 00000000BE00: D3B50022 1C8A2158
	v_mfma_f32_16x16x32_bf16 v[34:37], a[92:95], a[20:23], v[34:37]// 00000000BE08: D3B50022 1C8A295C
	v_mfma_f32_16x16x32_bf16 v[34:37], a[96:99], a[24:27], v[34:37]// 00000000BE10: D3B50022 1C8A3160
	v_mfma_f32_16x16x32_bf16 v[34:37], a[100:103], a[28:31], v[34:37]// 00000000BE18: D3B50022 1C8A3964
	ds_read_b128 a[72:75], v20 offset:18432                    // 00000000BE20: DBFE4800 48000014
	ds_read_b128 a[76:79], v20 offset:19456                    // 00000000BE28: DBFE4C00 4C000014
	v_mfma_f32_16x16x32_bf16 v[34:37], a[104:107], a[32:35], v[34:37]// 00000000BE30: D3B50022 1C8A4168
	v_mfma_f32_16x16x32_bf16 v[34:37], a[108:111], a[36:39], v[34:37]// 00000000BE38: D3B50022 1C8A496C
	ds_read_b128 a[80:83], v20 offset:20480                    // 00000000BE40: DBFE5000 50000014
	ds_read_b128 a[84:87], v20 offset:21504                    // 00000000BE48: DBFE5400 54000014
	v_mfma_f32_16x16x32_bf16 v[34:37], a[112:115], a[40:43], v[34:37]// 00000000BE50: D3B50022 1C8A5170
	v_mfma_f32_16x16x32_bf16 v[34:37], a[116:119], a[44:47], v[34:37]// 00000000BE58: D3B50022 1C8A5974
	ds_read_b128 a[88:91], v20 offset:22528                    // 00000000BE60: DBFE5800 58000014
	ds_read_b128 a[92:95], v20 offset:23552                    // 00000000BE68: DBFE5C00 5C000014
	v_mfma_f32_16x16x32_bf16 v[34:37], a[120:123], a[48:51], v[34:37]// 00000000BE70: D3B50022 1C8A6178
	v_mfma_f32_16x16x32_bf16 v[34:37], a[124:127], a[52:55], v[34:37]// 00000000BE78: D3B50022 1C8A697C
	ds_read_b128 a[96:99], v20 offset:24576                    // 00000000BE80: DBFE6000 60000014
	ds_read_b128 a[100:103], v20 offset:25600                  // 00000000BE88: DBFE6400 64000014
	v_mfma_f32_16x16x32_bf16 v[34:37], a[128:131], a[56:59], v[34:37]// 00000000BE90: D3B50022 1C8A7180
	v_mfma_f32_16x16x32_bf16 v[34:37], a[132:135], a[60:63], v[34:37]// 00000000BE98: D3B50022 1C8A7984
	ds_read_b128 a[104:107], v20 offset:26624                  // 00000000BEA0: DBFE6800 68000014
	ds_read_b128 a[108:111], v20 offset:27648                  // 00000000BEA8: DBFE6C00 6C000014
	v_mfma_f32_16x16x32_bf16 v[34:37], a[136:139], a[64:67], v[34:37]// 00000000BEB0: D3B50022 1C8A8188
	v_mfma_f32_16x16x32_bf16 v[34:37], a[140:143], a[68:71], v[34:37]// 00000000BEB8: D3B50022 1C8A898C
	ds_read_b128 a[112:115], v20 offset:28672                  // 00000000BEC0: DBFE7000 70000014
	ds_read_b128 a[116:119], v20 offset:29696                  // 00000000BEC8: DBFE7400 74000014
	ds_read_b128 a[120:123], v20 offset:30720                  // 00000000BED0: DBFE7800 78000014
	ds_read_b128 a[124:127], v20 offset:31744                  // 00000000BED8: DBFE7C00 7C000014
	ds_read_b128 a[128:131], v20 offset:32768                  // 00000000BEE0: DBFE8000 80000014
	ds_read_b128 a[132:135], v20 offset:33792                  // 00000000BEE8: DBFE8400 84000014
	ds_read_b128 a[136:139], v20 offset:34816                  // 00000000BEF0: DBFE8800 88000014
	ds_read_b128 a[140:143], v20 offset:35840                  // 00000000BEF8: DBFE8C00 8C000014
	s_waitcnt lgkmcnt(0)                                       // 00000000BF00: BF8CC07F
	v_mfma_f32_16x16x32_bf16 v[38:41], a[72:75], a[0:3], 0     // 00000000BF04: D3B50026 1A020148
	ds_read_b64_tr_b16 a[144:145], v12                         // 00000000BF0C: DBC60000 9000000C
	ds_read_b64_tr_b16 a[146:147], v12 offset:256              // 00000000BF14: DBC60100 9200000C
	ds_read_b64_tr_b16 a[148:149], v13                         // 00000000BF1C: DBC60000 9400000D
	ds_read_b64_tr_b16 a[150:151], v13 offset:256              // 00000000BF24: DBC60100 9600000D
	v_mfma_f32_16x16x32_bf16 v[38:41], a[76:79], a[4:7], v[38:41]// 00000000BF2C: D3B50026 1C9A094C
	ds_read_b64_tr_b16 a[152:153], v12 offset:1024             // 00000000BF34: DBC60400 9800000C
	ds_read_b64_tr_b16 a[154:155], v12 offset:1280             // 00000000BF3C: DBC60500 9A00000C
	ds_read_b64_tr_b16 a[156:157], v13 offset:1024             // 00000000BF44: DBC60400 9C00000D
	ds_read_b64_tr_b16 a[158:159], v13 offset:1280             // 00000000BF4C: DBC60500 9E00000D
	v_mfma_f32_16x16x32_bf16 v[38:41], a[80:83], a[8:11], v[38:41]// 00000000BF54: D3B50026 1C9A1150
	ds_read_b64_tr_b16 a[160:161], v12 offset:2048             // 00000000BF5C: DBC60800 A000000C
	ds_read_b64_tr_b16 a[162:163], v12 offset:2304             // 00000000BF64: DBC60900 A200000C
	ds_read_b64_tr_b16 a[164:165], v13 offset:2048             // 00000000BF6C: DBC60800 A400000D
	ds_read_b64_tr_b16 a[166:167], v13 offset:2304             // 00000000BF74: DBC60900 A600000D
	v_mfma_f32_16x16x32_bf16 v[38:41], a[84:87], a[12:15], v[38:41]// 00000000BF7C: D3B50026 1C9A1954
	ds_read_b64_tr_b16 a[168:169], v12 offset:3072             // 00000000BF84: DBC60C00 A800000C
	ds_read_b64_tr_b16 a[170:171], v12 offset:3328             // 00000000BF8C: DBC60D00 AA00000C
	ds_read_b64_tr_b16 a[172:173], v13 offset:3072             // 00000000BF94: DBC60C00 AC00000D
	ds_read_b64_tr_b16 a[174:175], v13 offset:3328             // 00000000BF9C: DBC60D00 AE00000D
	v_mfma_f32_16x16x32_bf16 v[38:41], a[88:91], a[16:19], v[38:41]// 00000000BFA4: D3B50026 1C9A2158
	ds_read_b64_tr_b16 a[176:177], v12 offset:4096             // 00000000BFAC: DBC61000 B000000C
	ds_read_b64_tr_b16 a[178:179], v12 offset:4352             // 00000000BFB4: DBC61100 B200000C
	ds_read_b64_tr_b16 a[180:181], v13 offset:4096             // 00000000BFBC: DBC61000 B400000D
	ds_read_b64_tr_b16 a[182:183], v13 offset:4352             // 00000000BFC4: DBC61100 B600000D
	v_mfma_f32_16x16x32_bf16 v[38:41], a[92:95], a[20:23], v[38:41]// 00000000BFCC: D3B50026 1C9A295C
	ds_read_b64_tr_b16 a[184:185], v12 offset:5120             // 00000000BFD4: DBC61400 B800000C
	ds_read_b64_tr_b16 a[186:187], v12 offset:5376             // 00000000BFDC: DBC61500 BA00000C
	ds_read_b64_tr_b16 a[188:189], v13 offset:5120             // 00000000BFE4: DBC61400 BC00000D
	ds_read_b64_tr_b16 a[190:191], v13 offset:5376             // 00000000BFEC: DBC61500 BE00000D
	v_mfma_f32_16x16x32_bf16 v[38:41], a[96:99], a[24:27], v[38:41]// 00000000BFF4: D3B50026 1C9A3160
	ds_read_b64_tr_b16 a[192:193], v12 offset:6144             // 00000000BFFC: DBC61800 C000000C
	ds_read_b64_tr_b16 a[194:195], v12 offset:6400             // 00000000C004: DBC61900 C200000C
	ds_read_b64_tr_b16 a[196:197], v13 offset:6144             // 00000000C00C: DBC61800 C400000D
	ds_read_b64_tr_b16 a[198:199], v13 offset:6400             // 00000000C014: DBC61900 C600000D
	v_mfma_f32_16x16x32_bf16 v[38:41], a[100:103], a[28:31], v[38:41]// 00000000C01C: D3B50026 1C9A3964
	ds_read_b64_tr_b16 a[200:201], v12 offset:7168             // 00000000C024: DBC61C00 C800000C
	ds_read_b64_tr_b16 a[202:203], v12 offset:7424             // 00000000C02C: DBC61D00 CA00000C
	ds_read_b64_tr_b16 a[204:205], v13 offset:7168             // 00000000C034: DBC61C00 CC00000D
	ds_read_b64_tr_b16 a[206:207], v13 offset:7424             // 00000000C03C: DBC61D00 CE00000D
	v_mfma_f32_16x16x32_bf16 v[38:41], a[104:107], a[32:35], v[38:41]// 00000000C044: D3B50026 1C9A4168
	v_mfma_f32_16x16x32_bf16 v[38:41], a[108:111], a[36:39], v[38:41]// 00000000C04C: D3B50026 1C9A496C
	v_mfma_f32_16x16x32_bf16 v[38:41], a[112:115], a[40:43], v[38:41]// 00000000C054: D3B50026 1C9A5170
	v_mfma_f32_16x16x32_bf16 v[38:41], a[116:119], a[44:47], v[38:41]// 00000000C05C: D3B50026 1C9A5974
	v_mfma_f32_16x16x32_bf16 v[38:41], a[120:123], a[48:51], v[38:41]// 00000000C064: D3B50026 1C9A6178
	v_mfma_f32_16x16x32_bf16 v[38:41], a[124:127], a[52:55], v[38:41]// 00000000C06C: D3B50026 1C9A697C
	v_mfma_f32_16x16x32_bf16 v[38:41], a[128:131], a[56:59], v[38:41]// 00000000C074: D3B50026 1C9A7180
	v_mfma_f32_16x16x32_bf16 v[38:41], a[132:135], a[60:63], v[38:41]// 00000000C07C: D3B50026 1C9A7984
	v_mfma_f32_16x16x32_bf16 v[38:41], a[136:139], a[64:67], v[38:41]// 00000000C084: D3B50026 1C9A8188
	v_mfma_f32_16x16x32_bf16 v[38:41], a[140:143], a[68:71], v[38:41]// 00000000C08C: D3B50026 1C9A898C
	s_nop 8                                                    // 00000000C094: BF800008
	s_and_b32 s56, s48, 0xff                                   // 00000000C098: 8638FF30 000000FF
	v_mov_b32_e32 v29, s56                                     // 00000000C0A0: 7E3A0238
	v_lshrrev_b32_e32 v18, 4, v0                               // 00000000C0A4: 20240084
	v_mul_i32_i24_e32 v18, 4, v18                              // 00000000C0A8: 0C242484
	v_add_u32_e32 v19, 1, v18                                  // 00000000C0AC: 68262481
	v_add_u32_e32 v20, 2, v18                                  // 00000000C0B0: 68282482
	v_add_u32_e32 v21, 3, v18                                  // 00000000C0B4: 682A2483
	v_mov_b32_e32 v28, 0xff800000                              // 00000000C0B8: 7E3802FF FF800000
	v_cmp_lt_u32_e64 s[36:37], v18, v29                        // 00000000C0C0: D0C90024 00023B12
	v_add_u32_e32 v18, 16, v18                                 // 00000000C0C8: 68242490
	s_nop 0                                                    // 00000000C0CC: BF800000
	v_cndmask_b32_e64 v34, v28, v34, s[36:37]                  // 00000000C0D0: D1000022 0092451C
	v_cmp_lt_u32_e64 s[36:37], v19, v29                        // 00000000C0D8: D0C90024 00023B13
	v_add_u32_e32 v19, 16, v19                                 // 00000000C0E0: 68262690
	s_nop 0                                                    // 00000000C0E4: BF800000
	v_cndmask_b32_e64 v35, v28, v35, s[36:37]                  // 00000000C0E8: D1000023 0092471C
	v_cmp_lt_u32_e64 s[36:37], v20, v29                        // 00000000C0F0: D0C90024 00023B14
	v_add_u32_e32 v20, 16, v20                                 // 00000000C0F8: 68282890
	s_nop 0                                                    // 00000000C0FC: BF800000
	v_cndmask_b32_e64 v36, v28, v36, s[36:37]                  // 00000000C100: D1000024 0092491C
	v_cmp_lt_u32_e64 s[36:37], v21, v29                        // 00000000C108: D0C90024 00023B15
	v_add_u32_e32 v21, 16, v21                                 // 00000000C110: 682A2A90
	s_nop 0                                                    // 00000000C114: BF800000
	v_cndmask_b32_e64 v37, v28, v37, s[36:37]                  // 00000000C118: D1000025 00924B1C
	v_cmp_lt_u32_e64 s[36:37], v18, v29                        // 00000000C120: D0C90024 00023B12
	v_add_u32_e32 v18, 16, v18                                 // 00000000C128: 68242490
	s_nop 0                                                    // 00000000C12C: BF800000
	v_cndmask_b32_e64 v38, v28, v38, s[36:37]                  // 00000000C130: D1000026 00924D1C
	v_cmp_lt_u32_e64 s[36:37], v19, v29                        // 00000000C138: D0C90024 00023B13
	v_add_u32_e32 v19, 16, v19                                 // 00000000C140: 68262690
	s_nop 0                                                    // 00000000C144: BF800000
	v_cndmask_b32_e64 v39, v28, v39, s[36:37]                  // 00000000C148: D1000027 00924F1C
	v_cmp_lt_u32_e64 s[36:37], v20, v29                        // 00000000C150: D0C90024 00023B14
	v_add_u32_e32 v20, 16, v20                                 // 00000000C158: 68282890
	s_nop 0                                                    // 00000000C15C: BF800000
	v_cndmask_b32_e64 v40, v28, v40, s[36:37]                  // 00000000C160: D1000028 0092511C
	v_cmp_lt_u32_e64 s[36:37], v21, v29                        // 00000000C168: D0C90024 00023B15
	v_add_u32_e32 v21, 16, v21                                 // 00000000C170: 682A2A90
	s_nop 0                                                    // 00000000C174: BF800000
	v_cndmask_b32_e64 v41, v28, v41, s[36:37]                  // 00000000C178: D1000029 0092531C
	s_nop 2                                                    // 00000000C180: BF800002
	v_mov_b32_e32 v29, v34                                     // 00000000C184: 7E3A0322
	v_max3_f32 v29, v34, v35, v29                              // 00000000C188: D1D3001D 04764722
	v_max3_f32 v29, v36, v37, v29                              // 00000000C190: D1D3001D 04764B24
	v_max3_f32 v29, v38, v39, v29                              // 00000000C198: D1D3001D 04764F26
	v_max3_f32 v29, v40, v41, v29                              // 00000000C1A0: D1D3001D 04765328
	v_mov_b32_e32 v28, v29                                     // 00000000C1A8: 7E38031D
	v_mov_b32_e32 v29, v29                                     // 00000000C1AC: 7E3A031D
	s_nop 1                                                    // 00000000C1B0: BF800001
	v_permlane16_swap_b32_e32 v28, v29                         // 00000000C1B4: 7E38B31D
	v_mov_b32_e32 v31, v28                                     // 00000000C1B8: 7E3E031C
	v_mov_b32_e32 v30, v29                                     // 00000000C1BC: 7E3C031D
	s_nop 1                                                    // 00000000C1C0: BF800001
	v_permlane32_swap_b32_e32 v28, v29                         // 00000000C1C4: 7E38B51D
	v_permlane32_swap_b32_e32 v30, v31                         // 00000000C1C8: 7E3CB51F
	v_max3_f32 v29, v28, v29, v29                              // 00000000C1CC: D1D3001D 04763B1C
	v_max3_f32 v29, v30, v31, v29                              // 00000000C1D4: D1D3001D 04763F1E
	v_mov_b32_e32 v28, 0xff800000                              // 00000000C1DC: 7E3802FF FF800000
	v_cmp_eq_u32_e64 s[36:37], v28, v2                         // 00000000C1E4: D0CA0024 0002051C
	v_max_f32_e32 v29, v29, v2                                 // 00000000C1EC: 163A051D
	v_sub_f32_e32 v16, v2, v29                                 // 00000000C1F0: 04203B02
	v_cndmask_b32_e64 v16, v16, 0, s[36:37]                    // 00000000C1F4: D1000010 00910110
	v_mov_b32_e32 v2, v29                                      // 00000000C1FC: 7E04031D
	v_mul_f32_e32 v29, s5, v29                                 // 00000000C200: 0A3A3A05
	v_mul_f32_e32 v16, s5, v16                                 // 00000000C204: 0A202005
	v_exp_f32_e32 v16, v16                                     // 00000000C208: 7E204110
	v_fma_f32 v34, v34, s5, -v29                               // 00000000C20C: D1CB0022 84740B22
	v_fma_f32 v35, v35, s5, -v29                               // 00000000C214: D1CB0023 84740B23
	v_fma_f32 v36, v36, s5, -v29                               // 00000000C21C: D1CB0024 84740B24
	v_fma_f32 v37, v37, s5, -v29                               // 00000000C224: D1CB0025 84740B25
	v_fma_f32 v38, v38, s5, -v29                               // 00000000C22C: D1CB0026 84740B26
	v_fma_f32 v39, v39, s5, -v29                               // 00000000C234: D1CB0027 84740B27
	v_fma_f32 v40, v40, s5, -v29                               // 00000000C23C: D1CB0028 84740B28
	v_fma_f32 v41, v41, s5, -v29                               // 00000000C244: D1CB0029 84740B29
	v_exp_f32_e32 v34, v34                                     // 00000000C24C: 7E444122
	v_exp_f32_e32 v35, v35                                     // 00000000C250: 7E464123
	v_exp_f32_e32 v36, v36                                     // 00000000C254: 7E484124
	v_exp_f32_e32 v37, v37                                     // 00000000C258: 7E4A4125
	v_exp_f32_e32 v38, v38                                     // 00000000C25C: 7E4C4126
	v_exp_f32_e32 v39, v39                                     // 00000000C260: 7E4E4127
	v_exp_f32_e32 v40, v40                                     // 00000000C264: 7E504128
	v_exp_f32_e32 v41, v41                                     // 00000000C268: 7E524129
	v_mul_f32_e32 v4, v16, v4                                  // 00000000C26C: 0A080910
	v_mov_b32_e32 v28, v34                                     // 00000000C270: 7E380322
	v_add_f32_e32 v28, v35, v28                                // 00000000C274: 02383923
	v_add_f32_e32 v28, v36, v28                                // 00000000C278: 02383924
	v_add_f32_e32 v28, v37, v28                                // 00000000C27C: 02383925
	v_add_f32_e32 v28, v38, v28                                // 00000000C280: 02383926
	v_add_f32_e32 v28, v39, v28                                // 00000000C284: 02383927
	v_add_f32_e32 v28, v40, v28                                // 00000000C288: 02383928
	v_add_f32_e32 v28, v41, v28                                // 00000000C28C: 02383929
	v_add_f32_e32 v4, v28, v4                                  // 00000000C290: 0208091C
	v_cvt_pk_bf16_f32 v34, v34, v35                            // 00000000C294: D2680022 00024722
	v_cvt_pk_bf16_f32 v35, v36, v37                            // 00000000C29C: D2680023 00024B24
	v_cvt_pk_bf16_f32 v36, v38, v39                            // 00000000C2A4: D2680024 00024F26
	v_cvt_pk_bf16_f32 v37, v40, v41                            // 00000000C2AC: D2680025 00025328
	s_nop 0                                                    // 00000000C2B4: BF800000
	v_permlane32_swap_b32_e32 v34, v36                         // 00000000C2B8: 7E44B524
	v_permlane32_swap_b32_e32 v35, v37                         // 00000000C2BC: 7E46B525
	s_nop 0                                                    // 00000000C2C0: BF800000
	v_permlane16_swap_b32_e32 v34, v36                         // 00000000C2C4: 7E44B324
	v_permlane16_swap_b32_e32 v35, v37                         // 00000000C2C8: 7E46B325
	v_mov_b32_e32 v30, v16                                     // 00000000C2CC: 7E3C0310
	v_mov_b32_e32 v31, v16                                     // 00000000C2D0: 7E3E0310
	v_pk_mul_f32 v[50:51], v[30:31], v[50:51]                  // 00000000C2D4: D3B14032 1802651E
	v_pk_mul_f32 v[52:53], v[30:31], v[52:53]                  // 00000000C2DC: D3B14034 1802691E
	v_pk_mul_f32 v[54:55], v[30:31], v[54:55]                  // 00000000C2E4: D3B14036 18026D1E
	v_pk_mul_f32 v[56:57], v[30:31], v[56:57]                  // 00000000C2EC: D3B14038 1802711E
	v_pk_mul_f32 v[58:59], v[30:31], v[58:59]                  // 00000000C2F4: D3B1403A 1802751E
	v_pk_mul_f32 v[60:61], v[30:31], v[60:61]                  // 00000000C2FC: D3B1403C 1802791E
	v_pk_mul_f32 v[62:63], v[30:31], v[62:63]                  // 00000000C304: D3B1403E 18027D1E
	v_pk_mul_f32 v[64:65], v[30:31], v[64:65]                  // 00000000C30C: D3B14040 1802811E
	v_pk_mul_f32 v[66:67], v[30:31], v[66:67]                  // 00000000C314: D3B14042 1802851E
	v_pk_mul_f32 v[68:69], v[30:31], v[68:69]                  // 00000000C31C: D3B14044 1802891E
	v_pk_mul_f32 v[70:71], v[30:31], v[70:71]                  // 00000000C324: D3B14046 18028D1E
	v_pk_mul_f32 v[72:73], v[30:31], v[72:73]                  // 00000000C32C: D3B14048 1802911E
	v_pk_mul_f32 v[74:75], v[30:31], v[74:75]                  // 00000000C334: D3B1404A 1802951E
	v_pk_mul_f32 v[76:77], v[30:31], v[76:77]                  // 00000000C33C: D3B1404C 1802991E
	v_pk_mul_f32 v[78:79], v[30:31], v[78:79]                  // 00000000C344: D3B1404E 18029D1E
	v_pk_mul_f32 v[80:81], v[30:31], v[80:81]                  // 00000000C34C: D3B14050 1802A11E
	v_pk_mul_f32 v[82:83], v[30:31], v[82:83]                  // 00000000C354: D3B14052 1802A51E
	v_pk_mul_f32 v[84:85], v[30:31], v[84:85]                  // 00000000C35C: D3B14054 1802A91E
	v_pk_mul_f32 v[86:87], v[30:31], v[86:87]                  // 00000000C364: D3B14056 1802AD1E
	v_pk_mul_f32 v[88:89], v[30:31], v[88:89]                  // 00000000C36C: D3B14058 1802B11E
	v_pk_mul_f32 v[90:91], v[30:31], v[90:91]                  // 00000000C374: D3B1405A 1802B51E
	v_pk_mul_f32 v[92:93], v[30:31], v[92:93]                  // 00000000C37C: D3B1405C 1802B91E
	v_pk_mul_f32 v[94:95], v[30:31], v[94:95]                  // 00000000C384: D3B1405E 1802BD1E
	v_pk_mul_f32 v[96:97], v[30:31], v[96:97]                  // 00000000C38C: D3B14060 1802C11E
	v_pk_mul_f32 v[98:99], v[30:31], v[98:99]                  // 00000000C394: D3B14062 1802C51E
	v_pk_mul_f32 v[100:101], v[30:31], v[100:101]              // 00000000C39C: D3B14064 1802C91E
	v_pk_mul_f32 v[102:103], v[30:31], v[102:103]              // 00000000C3A4: D3B14066 1802CD1E
	v_pk_mul_f32 v[104:105], v[30:31], v[104:105]              // 00000000C3AC: D3B14068 1802D11E
	v_pk_mul_f32 v[106:107], v[30:31], v[106:107]              // 00000000C3B4: D3B1406A 1802D51E
	v_pk_mul_f32 v[108:109], v[30:31], v[108:109]              // 00000000C3BC: D3B1406C 1802D91E
	v_pk_mul_f32 v[110:111], v[30:31], v[110:111]              // 00000000C3C4: D3B1406E 1802DD1E
	v_pk_mul_f32 v[112:113], v[30:31], v[112:113]              // 00000000C3CC: D3B14070 1802E11E
	v_pk_mul_f32 v[114:115], v[30:31], v[114:115]              // 00000000C3D4: D3B14072 1802E51E
	v_pk_mul_f32 v[116:117], v[30:31], v[116:117]              // 00000000C3DC: D3B14074 1802E91E
	v_pk_mul_f32 v[118:119], v[30:31], v[118:119]              // 00000000C3E4: D3B14076 1802ED1E
	v_pk_mul_f32 v[120:121], v[30:31], v[120:121]              // 00000000C3EC: D3B14078 1802F11E
	v_pk_mul_f32 v[122:123], v[30:31], v[122:123]              // 00000000C3F4: D3B1407A 1802F51E
	v_pk_mul_f32 v[124:125], v[30:31], v[124:125]              // 00000000C3FC: D3B1407C 1802F91E
	v_pk_mul_f32 v[126:127], v[30:31], v[126:127]              // 00000000C404: D3B1407E 1802FD1E
	v_pk_mul_f32 v[128:129], v[30:31], v[128:129]              // 00000000C40C: D3B14080 1803011E
	v_pk_mul_f32 v[130:131], v[30:31], v[130:131]              // 00000000C414: D3B14082 1803051E
	v_pk_mul_f32 v[132:133], v[30:31], v[132:133]              // 00000000C41C: D3B14084 1803091E
	v_pk_mul_f32 v[134:135], v[30:31], v[134:135]              // 00000000C424: D3B14086 18030D1E
	v_pk_mul_f32 v[136:137], v[30:31], v[136:137]              // 00000000C42C: D3B14088 1803111E
	v_pk_mul_f32 v[138:139], v[30:31], v[138:139]              // 00000000C434: D3B1408A 1803151E
	v_pk_mul_f32 v[140:141], v[30:31], v[140:141]              // 00000000C43C: D3B1408C 1803191E
	v_pk_mul_f32 v[142:143], v[30:31], v[142:143]              // 00000000C444: D3B1408E 18031D1E
	v_pk_mul_f32 v[144:145], v[30:31], v[144:145]              // 00000000C44C: D3B14090 1803211E
	v_pk_mul_f32 v[146:147], v[30:31], v[146:147]              // 00000000C454: D3B14092 1803251E
	v_pk_mul_f32 v[148:149], v[30:31], v[148:149]              // 00000000C45C: D3B14094 1803291E
	v_pk_mul_f32 v[150:151], v[30:31], v[150:151]              // 00000000C464: D3B14096 18032D1E
	v_pk_mul_f32 v[152:153], v[30:31], v[152:153]              // 00000000C46C: D3B14098 1803311E
	v_pk_mul_f32 v[154:155], v[30:31], v[154:155]              // 00000000C474: D3B1409A 1803351E
	v_pk_mul_f32 v[156:157], v[30:31], v[156:157]              // 00000000C47C: D3B1409C 1803391E
	v_pk_mul_f32 v[158:159], v[30:31], v[158:159]              // 00000000C484: D3B1409E 18033D1E
	v_pk_mul_f32 v[160:161], v[30:31], v[160:161]              // 00000000C48C: D3B140A0 1803411E
	v_pk_mul_f32 v[162:163], v[30:31], v[162:163]              // 00000000C494: D3B140A2 1803451E
	v_pk_mul_f32 v[164:165], v[30:31], v[164:165]              // 00000000C49C: D3B140A4 1803491E
	v_pk_mul_f32 v[166:167], v[30:31], v[166:167]              // 00000000C4A4: D3B140A6 18034D1E
	v_pk_mul_f32 v[168:169], v[30:31], v[168:169]              // 00000000C4AC: D3B140A8 1803511E
	v_pk_mul_f32 v[170:171], v[30:31], v[170:171]              // 00000000C4B4: D3B140AA 1803551E
	v_pk_mul_f32 v[172:173], v[30:31], v[172:173]              // 00000000C4BC: D3B140AC 1803591E
	v_pk_mul_f32 v[174:175], v[30:31], v[174:175]              // 00000000C4C4: D3B140AE 18035D1E
	v_pk_mul_f32 v[176:177], v[30:31], v[176:177]              // 00000000C4CC: D3B140B0 1803611E
	s_waitcnt lgkmcnt(0)                                       // 00000000C4D4: BF8CC07F
	v_mfma_f32_16x16x32_bf16 v[50:53], a[144:147], v[34:37], v[50:53]// 00000000C4D8: D3B50032 0CCA4590
	v_mfma_f32_16x16x32_bf16 v[54:57], a[148:151], v[34:37], v[54:57]// 00000000C4E0: D3B50036 0CDA4594
	v_mfma_f32_16x16x32_bf16 v[58:61], a[152:155], v[34:37], v[58:61]// 00000000C4E8: D3B5003A 0CEA4598
	v_mfma_f32_16x16x32_bf16 v[62:65], a[156:159], v[34:37], v[62:65]// 00000000C4F0: D3B5003E 0CFA459C
	v_mfma_f32_16x16x32_bf16 v[66:69], a[160:163], v[34:37], v[66:69]// 00000000C4F8: D3B50042 0D0A45A0
	v_mfma_f32_16x16x32_bf16 v[70:73], a[164:167], v[34:37], v[70:73]// 00000000C500: D3B50046 0D1A45A4
	v_mfma_f32_16x16x32_bf16 v[74:77], a[168:171], v[34:37], v[74:77]// 00000000C508: D3B5004A 0D2A45A8
	v_mfma_f32_16x16x32_bf16 v[78:81], a[172:175], v[34:37], v[78:81]// 00000000C510: D3B5004E 0D3A45AC
	v_mfma_f32_16x16x32_bf16 v[82:85], a[176:179], v[34:37], v[82:85]// 00000000C518: D3B50052 0D4A45B0
	v_mfma_f32_16x16x32_bf16 v[86:89], a[180:183], v[34:37], v[86:89]// 00000000C520: D3B50056 0D5A45B4
	v_mfma_f32_16x16x32_bf16 v[90:93], a[184:187], v[34:37], v[90:93]// 00000000C528: D3B5005A 0D6A45B8
	ds_read_b64_tr_b16 a[144:145], v12 offset:8192             // 00000000C530: DBC62000 9000000C
	ds_read_b64_tr_b16 a[146:147], v12 offset:8448             // 00000000C538: DBC62100 9200000C
	ds_read_b64_tr_b16 a[148:149], v13 offset:8192             // 00000000C540: DBC62000 9400000D
	ds_read_b64_tr_b16 a[150:151], v13 offset:8448             // 00000000C548: DBC62100 9600000D
	v_mfma_f32_16x16x32_bf16 v[94:97], a[188:191], v[34:37], v[94:97]// 00000000C550: D3B5005E 0D7A45BC
	ds_read_b64_tr_b16 a[152:153], v12 offset:9216             // 00000000C558: DBC62400 9800000C
	ds_read_b64_tr_b16 a[154:155], v12 offset:9472             // 00000000C560: DBC62500 9A00000C
	ds_read_b64_tr_b16 a[156:157], v13 offset:9216             // 00000000C568: DBC62400 9C00000D
	ds_read_b64_tr_b16 a[158:159], v13 offset:9472             // 00000000C570: DBC62500 9E00000D
	v_mfma_f32_16x16x32_bf16 v[98:101], a[192:195], v[34:37], v[98:101]// 00000000C578: D3B50062 0D8A45C0
	ds_read_b64_tr_b16 a[160:161], v12 offset:10240            // 00000000C580: DBC62800 A000000C
	ds_read_b64_tr_b16 a[162:163], v12 offset:10496            // 00000000C588: DBC62900 A200000C
	ds_read_b64_tr_b16 a[164:165], v13 offset:10240            // 00000000C590: DBC62800 A400000D
	ds_read_b64_tr_b16 a[166:167], v13 offset:10496            // 00000000C598: DBC62900 A600000D
	v_mfma_f32_16x16x32_bf16 v[102:105], a[196:199], v[34:37], v[102:105]// 00000000C5A0: D3B50066 0D9A45C4
	ds_read_b64_tr_b16 a[168:169], v12 offset:11264            // 00000000C5A8: DBC62C00 A800000C
	ds_read_b64_tr_b16 a[170:171], v12 offset:11520            // 00000000C5B0: DBC62D00 AA00000C
	ds_read_b64_tr_b16 a[172:173], v13 offset:11264            // 00000000C5B8: DBC62C00 AC00000D
	ds_read_b64_tr_b16 a[174:175], v13 offset:11520            // 00000000C5C0: DBC62D00 AE00000D
	v_mfma_f32_16x16x32_bf16 v[106:109], a[200:203], v[34:37], v[106:109]// 00000000C5C8: D3B5006A 0DAA45C8
	ds_read_b64_tr_b16 a[176:177], v12 offset:12288            // 00000000C5D0: DBC63000 B000000C
	ds_read_b64_tr_b16 a[178:179], v12 offset:12544            // 00000000C5D8: DBC63100 B200000C
	ds_read_b64_tr_b16 a[180:181], v13 offset:12288            // 00000000C5E0: DBC63000 B400000D
	ds_read_b64_tr_b16 a[182:183], v13 offset:12544            // 00000000C5E8: DBC63100 B600000D
	v_mfma_f32_16x16x32_bf16 v[110:113], a[204:207], v[34:37], v[110:113]// 00000000C5F0: D3B5006E 0DBA45CC
	ds_read_b64_tr_b16 a[184:185], v12 offset:13312            // 00000000C5F8: DBC63400 B800000C
	ds_read_b64_tr_b16 a[186:187], v12 offset:13568            // 00000000C600: DBC63500 BA00000C
	ds_read_b64_tr_b16 a[188:189], v13 offset:13312            // 00000000C608: DBC63400 BC00000D
	ds_read_b64_tr_b16 a[190:191], v13 offset:13568            // 00000000C610: DBC63500 BE00000D
	ds_read_b64_tr_b16 a[192:193], v12 offset:14336            // 00000000C618: DBC63800 C000000C
	ds_read_b64_tr_b16 a[194:195], v12 offset:14592            // 00000000C620: DBC63900 C200000C
	ds_read_b64_tr_b16 a[196:197], v13 offset:14336            // 00000000C628: DBC63800 C400000D
	ds_read_b64_tr_b16 a[198:199], v13 offset:14592            // 00000000C630: DBC63900 C600000D
	ds_read_b64_tr_b16 a[200:201], v12 offset:15360            // 00000000C638: DBC63C00 C800000C
	ds_read_b64_tr_b16 a[202:203], v12 offset:15616            // 00000000C640: DBC63D00 CA00000C
	ds_read_b64_tr_b16 a[204:205], v13 offset:15360            // 00000000C648: DBC63C00 CC00000D
	ds_read_b64_tr_b16 a[206:207], v13 offset:15616            // 00000000C650: DBC63D00 CE00000D
	s_waitcnt lgkmcnt(0)                                       // 00000000C658: BF8CC07F
	v_mfma_f32_16x16x32_bf16 v[114:117], a[144:147], v[34:37], v[114:117]// 00000000C65C: D3B50072 0DCA4590
	v_mfma_f32_16x16x32_bf16 v[118:121], a[148:151], v[34:37], v[118:121]// 00000000C664: D3B50076 0DDA4594
	v_mfma_f32_16x16x32_bf16 v[122:125], a[152:155], v[34:37], v[122:125]// 00000000C66C: D3B5007A 0DEA4598
	v_mfma_f32_16x16x32_bf16 v[126:129], a[156:159], v[34:37], v[126:129]// 00000000C674: D3B5007E 0DFA459C
	v_mfma_f32_16x16x32_bf16 v[130:133], a[160:163], v[34:37], v[130:133]// 00000000C67C: D3B50082 0E0A45A0
	v_mfma_f32_16x16x32_bf16 v[134:137], a[164:167], v[34:37], v[134:137]// 00000000C684: D3B50086 0E1A45A4
	v_mfma_f32_16x16x32_bf16 v[138:141], a[168:171], v[34:37], v[138:141]// 00000000C68C: D3B5008A 0E2A45A8
	v_mfma_f32_16x16x32_bf16 v[142:145], a[172:175], v[34:37], v[142:145]// 00000000C694: D3B5008E 0E3A45AC
	v_mfma_f32_16x16x32_bf16 v[146:149], a[176:179], v[34:37], v[146:149]// 00000000C69C: D3B50092 0E4A45B0
	v_mfma_f32_16x16x32_bf16 v[150:153], a[180:183], v[34:37], v[150:153]// 00000000C6A4: D3B50096 0E5A45B4
	v_mfma_f32_16x16x32_bf16 v[154:157], a[184:187], v[34:37], v[154:157]// 00000000C6AC: D3B5009A 0E6A45B8
	v_mfma_f32_16x16x32_bf16 v[158:161], a[188:191], v[34:37], v[158:161]// 00000000C6B4: D3B5009E 0E7A45BC
	v_mfma_f32_16x16x32_bf16 v[162:165], a[192:195], v[34:37], v[162:165]// 00000000C6BC: D3B500A2 0E8A45C0
	v_mfma_f32_16x16x32_bf16 v[166:169], a[196:199], v[34:37], v[166:169]// 00000000C6C4: D3B500A6 0E9A45C4
	v_mfma_f32_16x16x32_bf16 v[170:173], a[200:203], v[34:37], v[170:173]// 00000000C6CC: D3B500AA 0EAA45C8
	v_mfma_f32_16x16x32_bf16 v[174:177], a[204:207], v[34:37], v[174:177]// 00000000C6D4: D3B500AE 0EBA45CC
	s_nop 8                                                    // 00000000C6DC: BF800008
	s_branch label_ACF4                                        // 00000000C6E0: BF820242

000000000000c6e4 <label_A1E4>:
	s_waitcnt lgkmcnt(0)                                       // 00000000C6E4: BF8CC07F
	v_mfma_f32_16x16x32_bf16 v[42:45], a[72:75], a[0:3], 0     // 00000000C6E8: D3B5002A 1A020148
	v_mfma_f32_16x16x32_bf16 v[42:45], a[76:79], a[4:7], v[42:45]// 00000000C6F0: D3B5002A 1CAA094C
	v_mfma_f32_16x16x32_bf16 v[42:45], a[80:83], a[8:11], v[42:45]// 00000000C6F8: D3B5002A 1CAA1150
	v_mfma_f32_16x16x32_bf16 v[42:45], a[84:87], a[12:15], v[42:45]// 00000000C700: D3B5002A 1CAA1954
	v_mfma_f32_16x16x32_bf16 v[42:45], a[88:91], a[16:19], v[42:45]// 00000000C708: D3B5002A 1CAA2158
	v_mfma_f32_16x16x32_bf16 v[42:45], a[92:95], a[20:23], v[42:45]// 00000000C710: D3B5002A 1CAA295C
	v_mfma_f32_16x16x32_bf16 v[42:45], a[96:99], a[24:27], v[42:45]// 00000000C718: D3B5002A 1CAA3160
	v_mfma_f32_16x16x32_bf16 v[42:45], a[100:103], a[28:31], v[42:45]// 00000000C720: D3B5002A 1CAA3964
	ds_read_b128 a[72:75], v21 offset:18432                    // 00000000C728: DBFE4800 48000015
	ds_read_b128 a[76:79], v21 offset:19456                    // 00000000C730: DBFE4C00 4C000015
	v_mfma_f32_16x16x32_bf16 v[42:45], a[104:107], a[32:35], v[42:45]// 00000000C738: D3B5002A 1CAA4168
	v_mfma_f32_16x16x32_bf16 v[42:45], a[108:111], a[36:39], v[42:45]// 00000000C740: D3B5002A 1CAA496C
	ds_read_b128 a[80:83], v21 offset:20480                    // 00000000C748: DBFE5000 50000015
	ds_read_b128 a[84:87], v21 offset:21504                    // 00000000C750: DBFE5400 54000015
	v_mfma_f32_16x16x32_bf16 v[42:45], a[112:115], a[40:43], v[42:45]// 00000000C758: D3B5002A 1CAA5170
	v_mfma_f32_16x16x32_bf16 v[42:45], a[116:119], a[44:47], v[42:45]// 00000000C760: D3B5002A 1CAA5974
	ds_read_b128 a[88:91], v21 offset:22528                    // 00000000C768: DBFE5800 58000015
	ds_read_b128 a[92:95], v21 offset:23552                    // 00000000C770: DBFE5C00 5C000015
	v_mfma_f32_16x16x32_bf16 v[42:45], a[120:123], a[48:51], v[42:45]// 00000000C778: D3B5002A 1CAA6178
	v_mfma_f32_16x16x32_bf16 v[42:45], a[124:127], a[52:55], v[42:45]// 00000000C780: D3B5002A 1CAA697C
	ds_read_b128 a[96:99], v21 offset:24576                    // 00000000C788: DBFE6000 60000015
	ds_read_b128 a[100:103], v21 offset:25600                  // 00000000C790: DBFE6400 64000015
	v_mfma_f32_16x16x32_bf16 v[42:45], a[128:131], a[56:59], v[42:45]// 00000000C798: D3B5002A 1CAA7180
	v_mfma_f32_16x16x32_bf16 v[42:45], a[132:135], a[60:63], v[42:45]// 00000000C7A0: D3B5002A 1CAA7984
	ds_read_b128 a[104:107], v21 offset:26624                  // 00000000C7A8: DBFE6800 68000015
	ds_read_b128 a[108:111], v21 offset:27648                  // 00000000C7B0: DBFE6C00 6C000015
	v_mfma_f32_16x16x32_bf16 v[42:45], a[136:139], a[64:67], v[42:45]// 00000000C7B8: D3B5002A 1CAA8188
	v_mfma_f32_16x16x32_bf16 v[42:45], a[140:143], a[68:71], v[42:45]// 00000000C7C0: D3B5002A 1CAA898C
	ds_read_b128 a[112:115], v21 offset:28672                  // 00000000C7C8: DBFE7000 70000015
	ds_read_b128 a[116:119], v21 offset:29696                  // 00000000C7D0: DBFE7400 74000015
	ds_read_b128 a[120:123], v21 offset:30720                  // 00000000C7D8: DBFE7800 78000015
	ds_read_b128 a[124:127], v21 offset:31744                  // 00000000C7E0: DBFE7C00 7C000015
	ds_read_b128 a[128:131], v21 offset:32768                  // 00000000C7E8: DBFE8000 80000015
	ds_read_b128 a[132:135], v21 offset:33792                  // 00000000C7F0: DBFE8400 84000015
	ds_read_b128 a[136:139], v21 offset:34816                  // 00000000C7F8: DBFE8800 88000015
	ds_read_b128 a[140:143], v21 offset:35840                  // 00000000C800: DBFE8C00 8C000015
	s_waitcnt lgkmcnt(0)                                       // 00000000C808: BF8CC07F
	v_mfma_f32_16x16x32_bf16 v[46:49], a[72:75], a[0:3], 0     // 00000000C80C: D3B5002E 1A020148
	ds_read_b64_tr_b16 a[144:145], v14                         // 00000000C814: DBC60000 9000000E
	ds_read_b64_tr_b16 a[146:147], v14 offset:256              // 00000000C81C: DBC60100 9200000E
	ds_read_b64_tr_b16 a[148:149], v15                         // 00000000C824: DBC60000 9400000F
	ds_read_b64_tr_b16 a[150:151], v15 offset:256              // 00000000C82C: DBC60100 9600000F
	v_mfma_f32_16x16x32_bf16 v[46:49], a[76:79], a[4:7], v[46:49]// 00000000C834: D3B5002E 1CBA094C
	ds_read_b64_tr_b16 a[152:153], v14 offset:1024             // 00000000C83C: DBC60400 9800000E
	ds_read_b64_tr_b16 a[154:155], v14 offset:1280             // 00000000C844: DBC60500 9A00000E
	ds_read_b64_tr_b16 a[156:157], v15 offset:1024             // 00000000C84C: DBC60400 9C00000F
	ds_read_b64_tr_b16 a[158:159], v15 offset:1280             // 00000000C854: DBC60500 9E00000F
	v_mfma_f32_16x16x32_bf16 v[46:49], a[80:83], a[8:11], v[46:49]// 00000000C85C: D3B5002E 1CBA1150
	ds_read_b64_tr_b16 a[160:161], v14 offset:2048             // 00000000C864: DBC60800 A000000E
	ds_read_b64_tr_b16 a[162:163], v14 offset:2304             // 00000000C86C: DBC60900 A200000E
	ds_read_b64_tr_b16 a[164:165], v15 offset:2048             // 00000000C874: DBC60800 A400000F
	ds_read_b64_tr_b16 a[166:167], v15 offset:2304             // 00000000C87C: DBC60900 A600000F
	v_mfma_f32_16x16x32_bf16 v[46:49], a[84:87], a[12:15], v[46:49]// 00000000C884: D3B5002E 1CBA1954
	ds_read_b64_tr_b16 a[168:169], v14 offset:3072             // 00000000C88C: DBC60C00 A800000E
	ds_read_b64_tr_b16 a[170:171], v14 offset:3328             // 00000000C894: DBC60D00 AA00000E
	ds_read_b64_tr_b16 a[172:173], v15 offset:3072             // 00000000C89C: DBC60C00 AC00000F
	ds_read_b64_tr_b16 a[174:175], v15 offset:3328             // 00000000C8A4: DBC60D00 AE00000F
	v_mfma_f32_16x16x32_bf16 v[46:49], a[88:91], a[16:19], v[46:49]// 00000000C8AC: D3B5002E 1CBA2158
	ds_read_b64_tr_b16 a[176:177], v14 offset:4096             // 00000000C8B4: DBC61000 B000000E
	ds_read_b64_tr_b16 a[178:179], v14 offset:4352             // 00000000C8BC: DBC61100 B200000E
	ds_read_b64_tr_b16 a[180:181], v15 offset:4096             // 00000000C8C4: DBC61000 B400000F
	ds_read_b64_tr_b16 a[182:183], v15 offset:4352             // 00000000C8CC: DBC61100 B600000F
	v_mfma_f32_16x16x32_bf16 v[46:49], a[92:95], a[20:23], v[46:49]// 00000000C8D4: D3B5002E 1CBA295C
	ds_read_b64_tr_b16 a[184:185], v14 offset:5120             // 00000000C8DC: DBC61400 B800000E
	ds_read_b64_tr_b16 a[186:187], v14 offset:5376             // 00000000C8E4: DBC61500 BA00000E
	ds_read_b64_tr_b16 a[188:189], v15 offset:5120             // 00000000C8EC: DBC61400 BC00000F
	ds_read_b64_tr_b16 a[190:191], v15 offset:5376             // 00000000C8F4: DBC61500 BE00000F
	v_mfma_f32_16x16x32_bf16 v[46:49], a[96:99], a[24:27], v[46:49]// 00000000C8FC: D3B5002E 1CBA3160
	ds_read_b64_tr_b16 a[192:193], v14 offset:6144             // 00000000C904: DBC61800 C000000E
	ds_read_b64_tr_b16 a[194:195], v14 offset:6400             // 00000000C90C: DBC61900 C200000E
	ds_read_b64_tr_b16 a[196:197], v15 offset:6144             // 00000000C914: DBC61800 C400000F
	ds_read_b64_tr_b16 a[198:199], v15 offset:6400             // 00000000C91C: DBC61900 C600000F
	v_mfma_f32_16x16x32_bf16 v[46:49], a[100:103], a[28:31], v[46:49]// 00000000C924: D3B5002E 1CBA3964
	ds_read_b64_tr_b16 a[200:201], v14 offset:7168             // 00000000C92C: DBC61C00 C800000E
	ds_read_b64_tr_b16 a[202:203], v14 offset:7424             // 00000000C934: DBC61D00 CA00000E
	ds_read_b64_tr_b16 a[204:205], v15 offset:7168             // 00000000C93C: DBC61C00 CC00000F
	ds_read_b64_tr_b16 a[206:207], v15 offset:7424             // 00000000C944: DBC61D00 CE00000F
	v_mfma_f32_16x16x32_bf16 v[46:49], a[104:107], a[32:35], v[46:49]// 00000000C94C: D3B5002E 1CBA4168
	v_mfma_f32_16x16x32_bf16 v[46:49], a[108:111], a[36:39], v[46:49]// 00000000C954: D3B5002E 1CBA496C
	v_mfma_f32_16x16x32_bf16 v[46:49], a[112:115], a[40:43], v[46:49]// 00000000C95C: D3B5002E 1CBA5170
	v_mfma_f32_16x16x32_bf16 v[46:49], a[116:119], a[44:47], v[46:49]// 00000000C964: D3B5002E 1CBA5974
	v_mfma_f32_16x16x32_bf16 v[46:49], a[120:123], a[48:51], v[46:49]// 00000000C96C: D3B5002E 1CBA6178
	v_mfma_f32_16x16x32_bf16 v[46:49], a[124:127], a[52:55], v[46:49]// 00000000C974: D3B5002E 1CBA697C
	v_mfma_f32_16x16x32_bf16 v[46:49], a[128:131], a[56:59], v[46:49]// 00000000C97C: D3B5002E 1CBA7180
	v_mfma_f32_16x16x32_bf16 v[46:49], a[132:135], a[60:63], v[46:49]// 00000000C984: D3B5002E 1CBA7984
	v_mfma_f32_16x16x32_bf16 v[46:49], a[136:139], a[64:67], v[46:49]// 00000000C98C: D3B5002E 1CBA8188
	v_mfma_f32_16x16x32_bf16 v[46:49], a[140:143], a[68:71], v[46:49]// 00000000C994: D3B5002E 1CBA898C
	s_nop 8                                                    // 00000000C99C: BF800008
	s_and_b32 s56, s48, 0xff                                   // 00000000C9A0: 8638FF30 000000FF
	v_mov_b32_e32 v29, s56                                     // 00000000C9A8: 7E3A0238
	v_lshrrev_b32_e32 v18, 4, v0                               // 00000000C9AC: 20240084
	v_mul_i32_i24_e32 v18, 4, v18                              // 00000000C9B0: 0C242484
	v_add_u32_e32 v19, 1, v18                                  // 00000000C9B4: 68262481
	v_add_u32_e32 v20, 2, v18                                  // 00000000C9B8: 68282482
	v_add_u32_e32 v21, 3, v18                                  // 00000000C9BC: 682A2483
	v_mov_b32_e32 v28, 0xff800000                              // 00000000C9C0: 7E3802FF FF800000
	v_cmp_lt_u32_e64 s[36:37], v18, v29                        // 00000000C9C8: D0C90024 00023B12
	v_add_u32_e32 v18, 16, v18                                 // 00000000C9D0: 68242490
	s_nop 0                                                    // 00000000C9D4: BF800000
	v_cndmask_b32_e64 v42, v28, v42, s[36:37]                  // 00000000C9D8: D100002A 0092551C
	v_cmp_lt_u32_e64 s[36:37], v19, v29                        // 00000000C9E0: D0C90024 00023B13
	v_add_u32_e32 v19, 16, v19                                 // 00000000C9E8: 68262690
	s_nop 0                                                    // 00000000C9EC: BF800000
	v_cndmask_b32_e64 v43, v28, v43, s[36:37]                  // 00000000C9F0: D100002B 0092571C
	v_cmp_lt_u32_e64 s[36:37], v20, v29                        // 00000000C9F8: D0C90024 00023B14
	v_add_u32_e32 v20, 16, v20                                 // 00000000CA00: 68282890
	s_nop 0                                                    // 00000000CA04: BF800000
	v_cndmask_b32_e64 v44, v28, v44, s[36:37]                  // 00000000CA08: D100002C 0092591C
	v_cmp_lt_u32_e64 s[36:37], v21, v29                        // 00000000CA10: D0C90024 00023B15
	v_add_u32_e32 v21, 16, v21                                 // 00000000CA18: 682A2A90
	s_nop 0                                                    // 00000000CA1C: BF800000
	v_cndmask_b32_e64 v45, v28, v45, s[36:37]                  // 00000000CA20: D100002D 00925B1C
	v_cmp_lt_u32_e64 s[36:37], v18, v29                        // 00000000CA28: D0C90024 00023B12
	v_add_u32_e32 v18, 16, v18                                 // 00000000CA30: 68242490
	s_nop 0                                                    // 00000000CA34: BF800000
	v_cndmask_b32_e64 v46, v28, v46, s[36:37]                  // 00000000CA38: D100002E 00925D1C
	v_cmp_lt_u32_e64 s[36:37], v19, v29                        // 00000000CA40: D0C90024 00023B13
	v_add_u32_e32 v19, 16, v19                                 // 00000000CA48: 68262690
	s_nop 0                                                    // 00000000CA4C: BF800000
	v_cndmask_b32_e64 v47, v28, v47, s[36:37]                  // 00000000CA50: D100002F 00925F1C
	v_cmp_lt_u32_e64 s[36:37], v20, v29                        // 00000000CA58: D0C90024 00023B14
	v_add_u32_e32 v20, 16, v20                                 // 00000000CA60: 68282890
	s_nop 0                                                    // 00000000CA64: BF800000
	v_cndmask_b32_e64 v48, v28, v48, s[36:37]                  // 00000000CA68: D1000030 0092611C
	v_cmp_lt_u32_e64 s[36:37], v21, v29                        // 00000000CA70: D0C90024 00023B15
	v_add_u32_e32 v21, 16, v21                                 // 00000000CA78: 682A2A90
	s_nop 0                                                    // 00000000CA7C: BF800000
	v_cndmask_b32_e64 v49, v28, v49, s[36:37]                  // 00000000CA80: D1000031 0092631C
	s_nop 2                                                    // 00000000CA88: BF800002
	v_mov_b32_e32 v29, v42                                     // 00000000CA8C: 7E3A032A
	v_max3_f32 v29, v42, v43, v29                              // 00000000CA90: D1D3001D 0476572A
	v_max3_f32 v29, v44, v45, v29                              // 00000000CA98: D1D3001D 04765B2C
	v_max3_f32 v29, v46, v47, v29                              // 00000000CAA0: D1D3001D 04765F2E
	v_max3_f32 v29, v48, v49, v29                              // 00000000CAA8: D1D3001D 04766330
	v_mov_b32_e32 v28, v29                                     // 00000000CAB0: 7E38031D
	v_mov_b32_e32 v29, v29                                     // 00000000CAB4: 7E3A031D
	s_nop 1                                                    // 00000000CAB8: BF800001
	v_permlane16_swap_b32_e32 v28, v29                         // 00000000CABC: 7E38B31D
	v_mov_b32_e32 v31, v28                                     // 00000000CAC0: 7E3E031C
	v_mov_b32_e32 v30, v29                                     // 00000000CAC4: 7E3C031D
	s_nop 1                                                    // 00000000CAC8: BF800001
	v_permlane32_swap_b32_e32 v28, v29                         // 00000000CACC: 7E38B51D
	v_permlane32_swap_b32_e32 v30, v31                         // 00000000CAD0: 7E3CB51F
	v_max3_f32 v29, v28, v29, v29                              // 00000000CAD4: D1D3001D 04763B1C
	v_max3_f32 v29, v30, v31, v29                              // 00000000CADC: D1D3001D 04763F1E
	v_mov_b32_e32 v28, 0xff800000                              // 00000000CAE4: 7E3802FF FF800000
	v_cmp_eq_u32_e64 s[36:37], v28, v2                         // 00000000CAEC: D0CA0024 0002051C
	v_max_f32_e32 v29, v29, v2                                 // 00000000CAF4: 163A051D
	v_sub_f32_e32 v16, v2, v29                                 // 00000000CAF8: 04203B02
	v_cndmask_b32_e64 v16, v16, 0, s[36:37]                    // 00000000CAFC: D1000010 00910110
	v_mov_b32_e32 v2, v29                                      // 00000000CB04: 7E04031D
	v_mul_f32_e32 v29, s5, v29                                 // 00000000CB08: 0A3A3A05
	v_mul_f32_e32 v16, s5, v16                                 // 00000000CB0C: 0A202005
	v_exp_f32_e32 v16, v16                                     // 00000000CB10: 7E204110
	v_fma_f32 v42, v42, s5, -v29                               // 00000000CB14: D1CB002A 84740B2A
	v_fma_f32 v43, v43, s5, -v29                               // 00000000CB1C: D1CB002B 84740B2B
	v_fma_f32 v44, v44, s5, -v29                               // 00000000CB24: D1CB002C 84740B2C
	v_fma_f32 v45, v45, s5, -v29                               // 00000000CB2C: D1CB002D 84740B2D
	v_fma_f32 v46, v46, s5, -v29                               // 00000000CB34: D1CB002E 84740B2E
	v_fma_f32 v47, v47, s5, -v29                               // 00000000CB3C: D1CB002F 84740B2F
	v_fma_f32 v48, v48, s5, -v29                               // 00000000CB44: D1CB0030 84740B30
	v_fma_f32 v49, v49, s5, -v29                               // 00000000CB4C: D1CB0031 84740B31
	v_exp_f32_e32 v42, v42                                     // 00000000CB54: 7E54412A
	v_exp_f32_e32 v43, v43                                     // 00000000CB58: 7E56412B
	v_exp_f32_e32 v44, v44                                     // 00000000CB5C: 7E58412C
	v_exp_f32_e32 v45, v45                                     // 00000000CB60: 7E5A412D
	v_exp_f32_e32 v46, v46                                     // 00000000CB64: 7E5C412E
	v_exp_f32_e32 v47, v47                                     // 00000000CB68: 7E5E412F
	v_exp_f32_e32 v48, v48                                     // 00000000CB6C: 7E604130
	v_exp_f32_e32 v49, v49                                     // 00000000CB70: 7E624131
	v_mul_f32_e32 v4, v16, v4                                  // 00000000CB74: 0A080910
	v_mov_b32_e32 v28, v42                                     // 00000000CB78: 7E38032A
	v_add_f32_e32 v28, v43, v28                                // 00000000CB7C: 0238392B
	v_add_f32_e32 v28, v44, v28                                // 00000000CB80: 0238392C
	v_add_f32_e32 v28, v45, v28                                // 00000000CB84: 0238392D
	v_add_f32_e32 v28, v46, v28                                // 00000000CB88: 0238392E
	v_add_f32_e32 v28, v47, v28                                // 00000000CB8C: 0238392F
	v_add_f32_e32 v28, v48, v28                                // 00000000CB90: 02383930
	v_add_f32_e32 v28, v49, v28                                // 00000000CB94: 02383931
	v_add_f32_e32 v4, v28, v4                                  // 00000000CB98: 0208091C
	v_cvt_pk_bf16_f32 v42, v42, v43                            // 00000000CB9C: D268002A 0002572A
	v_cvt_pk_bf16_f32 v43, v44, v45                            // 00000000CBA4: D268002B 00025B2C
	v_cvt_pk_bf16_f32 v44, v46, v47                            // 00000000CBAC: D268002C 00025F2E
	v_cvt_pk_bf16_f32 v45, v48, v49                            // 00000000CBB4: D268002D 00026330
	s_nop 0                                                    // 00000000CBBC: BF800000
	v_permlane32_swap_b32_e32 v42, v44                         // 00000000CBC0: 7E54B52C
	v_permlane32_swap_b32_e32 v43, v45                         // 00000000CBC4: 7E56B52D
	s_nop 0                                                    // 00000000CBC8: BF800000
	v_permlane16_swap_b32_e32 v42, v44                         // 00000000CBCC: 7E54B32C
	v_permlane16_swap_b32_e32 v43, v45                         // 00000000CBD0: 7E56B32D
	v_mov_b32_e32 v30, v16                                     // 00000000CBD4: 7E3C0310
	v_mov_b32_e32 v31, v16                                     // 00000000CBD8: 7E3E0310
	v_pk_mul_f32 v[50:51], v[30:31], v[50:51]                  // 00000000CBDC: D3B14032 1802651E
	v_pk_mul_f32 v[52:53], v[30:31], v[52:53]                  // 00000000CBE4: D3B14034 1802691E
	v_pk_mul_f32 v[54:55], v[30:31], v[54:55]                  // 00000000CBEC: D3B14036 18026D1E
	v_pk_mul_f32 v[56:57], v[30:31], v[56:57]                  // 00000000CBF4: D3B14038 1802711E
	v_pk_mul_f32 v[58:59], v[30:31], v[58:59]                  // 00000000CBFC: D3B1403A 1802751E
	v_pk_mul_f32 v[60:61], v[30:31], v[60:61]                  // 00000000CC04: D3B1403C 1802791E
	v_pk_mul_f32 v[62:63], v[30:31], v[62:63]                  // 00000000CC0C: D3B1403E 18027D1E
	v_pk_mul_f32 v[64:65], v[30:31], v[64:65]                  // 00000000CC14: D3B14040 1802811E
	v_pk_mul_f32 v[66:67], v[30:31], v[66:67]                  // 00000000CC1C: D3B14042 1802851E
	v_pk_mul_f32 v[68:69], v[30:31], v[68:69]                  // 00000000CC24: D3B14044 1802891E
	v_pk_mul_f32 v[70:71], v[30:31], v[70:71]                  // 00000000CC2C: D3B14046 18028D1E
	v_pk_mul_f32 v[72:73], v[30:31], v[72:73]                  // 00000000CC34: D3B14048 1802911E
	v_pk_mul_f32 v[74:75], v[30:31], v[74:75]                  // 00000000CC3C: D3B1404A 1802951E
	v_pk_mul_f32 v[76:77], v[30:31], v[76:77]                  // 00000000CC44: D3B1404C 1802991E
	v_pk_mul_f32 v[78:79], v[30:31], v[78:79]                  // 00000000CC4C: D3B1404E 18029D1E
	v_pk_mul_f32 v[80:81], v[30:31], v[80:81]                  // 00000000CC54: D3B14050 1802A11E
	v_pk_mul_f32 v[82:83], v[30:31], v[82:83]                  // 00000000CC5C: D3B14052 1802A51E
	v_pk_mul_f32 v[84:85], v[30:31], v[84:85]                  // 00000000CC64: D3B14054 1802A91E
	v_pk_mul_f32 v[86:87], v[30:31], v[86:87]                  // 00000000CC6C: D3B14056 1802AD1E
	v_pk_mul_f32 v[88:89], v[30:31], v[88:89]                  // 00000000CC74: D3B14058 1802B11E
	v_pk_mul_f32 v[90:91], v[30:31], v[90:91]                  // 00000000CC7C: D3B1405A 1802B51E
	v_pk_mul_f32 v[92:93], v[30:31], v[92:93]                  // 00000000CC84: D3B1405C 1802B91E
	v_pk_mul_f32 v[94:95], v[30:31], v[94:95]                  // 00000000CC8C: D3B1405E 1802BD1E
	v_pk_mul_f32 v[96:97], v[30:31], v[96:97]                  // 00000000CC94: D3B14060 1802C11E
	v_pk_mul_f32 v[98:99], v[30:31], v[98:99]                  // 00000000CC9C: D3B14062 1802C51E
	v_pk_mul_f32 v[100:101], v[30:31], v[100:101]              // 00000000CCA4: D3B14064 1802C91E
	v_pk_mul_f32 v[102:103], v[30:31], v[102:103]              // 00000000CCAC: D3B14066 1802CD1E
	v_pk_mul_f32 v[104:105], v[30:31], v[104:105]              // 00000000CCB4: D3B14068 1802D11E
	v_pk_mul_f32 v[106:107], v[30:31], v[106:107]              // 00000000CCBC: D3B1406A 1802D51E
	v_pk_mul_f32 v[108:109], v[30:31], v[108:109]              // 00000000CCC4: D3B1406C 1802D91E
	v_pk_mul_f32 v[110:111], v[30:31], v[110:111]              // 00000000CCCC: D3B1406E 1802DD1E
	v_pk_mul_f32 v[112:113], v[30:31], v[112:113]              // 00000000CCD4: D3B14070 1802E11E
	v_pk_mul_f32 v[114:115], v[30:31], v[114:115]              // 00000000CCDC: D3B14072 1802E51E
	v_pk_mul_f32 v[116:117], v[30:31], v[116:117]              // 00000000CCE4: D3B14074 1802E91E
	v_pk_mul_f32 v[118:119], v[30:31], v[118:119]              // 00000000CCEC: D3B14076 1802ED1E
	v_pk_mul_f32 v[120:121], v[30:31], v[120:121]              // 00000000CCF4: D3B14078 1802F11E
	v_pk_mul_f32 v[122:123], v[30:31], v[122:123]              // 00000000CCFC: D3B1407A 1802F51E
	v_pk_mul_f32 v[124:125], v[30:31], v[124:125]              // 00000000CD04: D3B1407C 1802F91E
	v_pk_mul_f32 v[126:127], v[30:31], v[126:127]              // 00000000CD0C: D3B1407E 1802FD1E
	v_pk_mul_f32 v[128:129], v[30:31], v[128:129]              // 00000000CD14: D3B14080 1803011E
	v_pk_mul_f32 v[130:131], v[30:31], v[130:131]              // 00000000CD1C: D3B14082 1803051E
	v_pk_mul_f32 v[132:133], v[30:31], v[132:133]              // 00000000CD24: D3B14084 1803091E
	v_pk_mul_f32 v[134:135], v[30:31], v[134:135]              // 00000000CD2C: D3B14086 18030D1E
	v_pk_mul_f32 v[136:137], v[30:31], v[136:137]              // 00000000CD34: D3B14088 1803111E
	v_pk_mul_f32 v[138:139], v[30:31], v[138:139]              // 00000000CD3C: D3B1408A 1803151E
	v_pk_mul_f32 v[140:141], v[30:31], v[140:141]              // 00000000CD44: D3B1408C 1803191E
	v_pk_mul_f32 v[142:143], v[30:31], v[142:143]              // 00000000CD4C: D3B1408E 18031D1E
	v_pk_mul_f32 v[144:145], v[30:31], v[144:145]              // 00000000CD54: D3B14090 1803211E
	v_pk_mul_f32 v[146:147], v[30:31], v[146:147]              // 00000000CD5C: D3B14092 1803251E
	v_pk_mul_f32 v[148:149], v[30:31], v[148:149]              // 00000000CD64: D3B14094 1803291E
	v_pk_mul_f32 v[150:151], v[30:31], v[150:151]              // 00000000CD6C: D3B14096 18032D1E
	v_pk_mul_f32 v[152:153], v[30:31], v[152:153]              // 00000000CD74: D3B14098 1803311E
	v_pk_mul_f32 v[154:155], v[30:31], v[154:155]              // 00000000CD7C: D3B1409A 1803351E
	v_pk_mul_f32 v[156:157], v[30:31], v[156:157]              // 00000000CD84: D3B1409C 1803391E
	v_pk_mul_f32 v[158:159], v[30:31], v[158:159]              // 00000000CD8C: D3B1409E 18033D1E
	v_pk_mul_f32 v[160:161], v[30:31], v[160:161]              // 00000000CD94: D3B140A0 1803411E
	v_pk_mul_f32 v[162:163], v[30:31], v[162:163]              // 00000000CD9C: D3B140A2 1803451E
	v_pk_mul_f32 v[164:165], v[30:31], v[164:165]              // 00000000CDA4: D3B140A4 1803491E
	v_pk_mul_f32 v[166:167], v[30:31], v[166:167]              // 00000000CDAC: D3B140A6 18034D1E
	v_pk_mul_f32 v[168:169], v[30:31], v[168:169]              // 00000000CDB4: D3B140A8 1803511E
	v_pk_mul_f32 v[170:171], v[30:31], v[170:171]              // 00000000CDBC: D3B140AA 1803551E
	v_pk_mul_f32 v[172:173], v[30:31], v[172:173]              // 00000000CDC4: D3B140AC 1803591E
	v_pk_mul_f32 v[174:175], v[30:31], v[174:175]              // 00000000CDCC: D3B140AE 18035D1E
	v_pk_mul_f32 v[176:177], v[30:31], v[176:177]              // 00000000CDD4: D3B140B0 1803611E
	s_waitcnt lgkmcnt(0)                                       // 00000000CDDC: BF8CC07F
	v_mfma_f32_16x16x32_bf16 v[50:53], a[144:147], v[42:45], v[50:53]// 00000000CDE0: D3B50032 0CCA5590
	v_mfma_f32_16x16x32_bf16 v[54:57], a[148:151], v[42:45], v[54:57]// 00000000CDE8: D3B50036 0CDA5594
	v_mfma_f32_16x16x32_bf16 v[58:61], a[152:155], v[42:45], v[58:61]// 00000000CDF0: D3B5003A 0CEA5598
	v_mfma_f32_16x16x32_bf16 v[62:65], a[156:159], v[42:45], v[62:65]// 00000000CDF8: D3B5003E 0CFA559C
	v_mfma_f32_16x16x32_bf16 v[66:69], a[160:163], v[42:45], v[66:69]// 00000000CE00: D3B50042 0D0A55A0
	v_mfma_f32_16x16x32_bf16 v[70:73], a[164:167], v[42:45], v[70:73]// 00000000CE08: D3B50046 0D1A55A4
	v_mfma_f32_16x16x32_bf16 v[74:77], a[168:171], v[42:45], v[74:77]// 00000000CE10: D3B5004A 0D2A55A8
	v_mfma_f32_16x16x32_bf16 v[78:81], a[172:175], v[42:45], v[78:81]// 00000000CE18: D3B5004E 0D3A55AC
	v_mfma_f32_16x16x32_bf16 v[82:85], a[176:179], v[42:45], v[82:85]// 00000000CE20: D3B50052 0D4A55B0
	v_mfma_f32_16x16x32_bf16 v[86:89], a[180:183], v[42:45], v[86:89]// 00000000CE28: D3B50056 0D5A55B4
	v_mfma_f32_16x16x32_bf16 v[90:93], a[184:187], v[42:45], v[90:93]// 00000000CE30: D3B5005A 0D6A55B8
	ds_read_b64_tr_b16 a[144:145], v14 offset:8192             // 00000000CE38: DBC62000 9000000E
	ds_read_b64_tr_b16 a[146:147], v14 offset:8448             // 00000000CE40: DBC62100 9200000E
	ds_read_b64_tr_b16 a[148:149], v15 offset:8192             // 00000000CE48: DBC62000 9400000F
	ds_read_b64_tr_b16 a[150:151], v15 offset:8448             // 00000000CE50: DBC62100 9600000F
	v_mfma_f32_16x16x32_bf16 v[94:97], a[188:191], v[42:45], v[94:97]// 00000000CE58: D3B5005E 0D7A55BC
	ds_read_b64_tr_b16 a[152:153], v14 offset:9216             // 00000000CE60: DBC62400 9800000E
	ds_read_b64_tr_b16 a[154:155], v14 offset:9472             // 00000000CE68: DBC62500 9A00000E
	ds_read_b64_tr_b16 a[156:157], v15 offset:9216             // 00000000CE70: DBC62400 9C00000F
	ds_read_b64_tr_b16 a[158:159], v15 offset:9472             // 00000000CE78: DBC62500 9E00000F
	v_mfma_f32_16x16x32_bf16 v[98:101], a[192:195], v[42:45], v[98:101]// 00000000CE80: D3B50062 0D8A55C0
	ds_read_b64_tr_b16 a[160:161], v14 offset:10240            // 00000000CE88: DBC62800 A000000E
	ds_read_b64_tr_b16 a[162:163], v14 offset:10496            // 00000000CE90: DBC62900 A200000E
	ds_read_b64_tr_b16 a[164:165], v15 offset:10240            // 00000000CE98: DBC62800 A400000F
	ds_read_b64_tr_b16 a[166:167], v15 offset:10496            // 00000000CEA0: DBC62900 A600000F
	v_mfma_f32_16x16x32_bf16 v[102:105], a[196:199], v[42:45], v[102:105]// 00000000CEA8: D3B50066 0D9A55C4
	ds_read_b64_tr_b16 a[168:169], v14 offset:11264            // 00000000CEB0: DBC62C00 A800000E
	ds_read_b64_tr_b16 a[170:171], v14 offset:11520            // 00000000CEB8: DBC62D00 AA00000E
	ds_read_b64_tr_b16 a[172:173], v15 offset:11264            // 00000000CEC0: DBC62C00 AC00000F
	ds_read_b64_tr_b16 a[174:175], v15 offset:11520            // 00000000CEC8: DBC62D00 AE00000F
	v_mfma_f32_16x16x32_bf16 v[106:109], a[200:203], v[42:45], v[106:109]// 00000000CED0: D3B5006A 0DAA55C8
	ds_read_b64_tr_b16 a[176:177], v14 offset:12288            // 00000000CED8: DBC63000 B000000E
	ds_read_b64_tr_b16 a[178:179], v14 offset:12544            // 00000000CEE0: DBC63100 B200000E
	ds_read_b64_tr_b16 a[180:181], v15 offset:12288            // 00000000CEE8: DBC63000 B400000F
	ds_read_b64_tr_b16 a[182:183], v15 offset:12544            // 00000000CEF0: DBC63100 B600000F
	v_mfma_f32_16x16x32_bf16 v[110:113], a[204:207], v[42:45], v[110:113]// 00000000CEF8: D3B5006E 0DBA55CC
	ds_read_b64_tr_b16 a[184:185], v14 offset:13312            // 00000000CF00: DBC63400 B800000E
	ds_read_b64_tr_b16 a[186:187], v14 offset:13568            // 00000000CF08: DBC63500 BA00000E
	ds_read_b64_tr_b16 a[188:189], v15 offset:13312            // 00000000CF10: DBC63400 BC00000F
	ds_read_b64_tr_b16 a[190:191], v15 offset:13568            // 00000000CF18: DBC63500 BE00000F
	ds_read_b64_tr_b16 a[192:193], v14 offset:14336            // 00000000CF20: DBC63800 C000000E
	ds_read_b64_tr_b16 a[194:195], v14 offset:14592            // 00000000CF28: DBC63900 C200000E
	ds_read_b64_tr_b16 a[196:197], v15 offset:14336            // 00000000CF30: DBC63800 C400000F
	ds_read_b64_tr_b16 a[198:199], v15 offset:14592            // 00000000CF38: DBC63900 C600000F
	ds_read_b64_tr_b16 a[200:201], v14 offset:15360            // 00000000CF40: DBC63C00 C800000E
	ds_read_b64_tr_b16 a[202:203], v14 offset:15616            // 00000000CF48: DBC63D00 CA00000E
	ds_read_b64_tr_b16 a[204:205], v15 offset:15360            // 00000000CF50: DBC63C00 CC00000F
	ds_read_b64_tr_b16 a[206:207], v15 offset:15616            // 00000000CF58: DBC63D00 CE00000F
	s_waitcnt lgkmcnt(0)                                       // 00000000CF60: BF8CC07F
	v_mfma_f32_16x16x32_bf16 v[114:117], a[144:147], v[42:45], v[114:117]// 00000000CF64: D3B50072 0DCA5590
	v_mfma_f32_16x16x32_bf16 v[118:121], a[148:151], v[42:45], v[118:121]// 00000000CF6C: D3B50076 0DDA5594
	v_mfma_f32_16x16x32_bf16 v[122:125], a[152:155], v[42:45], v[122:125]// 00000000CF74: D3B5007A 0DEA5598
	v_mfma_f32_16x16x32_bf16 v[126:129], a[156:159], v[42:45], v[126:129]// 00000000CF7C: D3B5007E 0DFA559C
	v_mfma_f32_16x16x32_bf16 v[130:133], a[160:163], v[42:45], v[130:133]// 00000000CF84: D3B50082 0E0A55A0
	v_mfma_f32_16x16x32_bf16 v[134:137], a[164:167], v[42:45], v[134:137]// 00000000CF8C: D3B50086 0E1A55A4
	v_mfma_f32_16x16x32_bf16 v[138:141], a[168:171], v[42:45], v[138:141]// 00000000CF94: D3B5008A 0E2A55A8
	v_mfma_f32_16x16x32_bf16 v[142:145], a[172:175], v[42:45], v[142:145]// 00000000CF9C: D3B5008E 0E3A55AC
	v_mfma_f32_16x16x32_bf16 v[146:149], a[176:179], v[42:45], v[146:149]// 00000000CFA4: D3B50092 0E4A55B0
	v_mfma_f32_16x16x32_bf16 v[150:153], a[180:183], v[42:45], v[150:153]// 00000000CFAC: D3B50096 0E5A55B4
	v_mfma_f32_16x16x32_bf16 v[154:157], a[184:187], v[42:45], v[154:157]// 00000000CFB4: D3B5009A 0E6A55B8
	v_mfma_f32_16x16x32_bf16 v[158:161], a[188:191], v[42:45], v[158:161]// 00000000CFBC: D3B5009E 0E7A55BC
	v_mfma_f32_16x16x32_bf16 v[162:165], a[192:195], v[42:45], v[162:165]// 00000000CFC4: D3B500A2 0E8A55C0
	v_mfma_f32_16x16x32_bf16 v[166:169], a[196:199], v[42:45], v[166:169]// 00000000CFCC: D3B500A6 0E9A55C4
	v_mfma_f32_16x16x32_bf16 v[170:173], a[200:203], v[42:45], v[170:173]// 00000000CFD4: D3B500AA 0EAA55C8
	v_mfma_f32_16x16x32_bf16 v[174:177], a[204:207], v[42:45], v[174:177]// 00000000CFDC: D3B500AE 0EBA55CC
	s_nop 8                                                    // 00000000CFE4: BF800008
	s_branch label_ACF4                                        // 00000000CFE8: BF820000

000000000000cfec <label_ACF4>:
	v_mov_b32_e32 v28, v4                                      // 00000000CFEC: 7E380304
	v_mov_b32_e32 v29, v4                                      // 00000000CFF0: 7E3A0304
	s_nop 1                                                    // 00000000CFF4: BF800001
	v_permlane16_swap_b32_e32 v28, v29                         // 00000000CFF8: 7E38B31D
	v_mov_b32_e32 v31, v28                                     // 00000000CFFC: 7E3E031C
	v_mov_b32_e32 v30, v29                                     // 00000000D000: 7E3C031D
	s_nop 1                                                    // 00000000D004: BF800001
	v_permlane32_swap_b32_e32 v28, v29                         // 00000000D008: 7E38B51D
	v_permlane32_swap_b32_e32 v30, v31                         // 00000000D00C: 7E3CB51F
	v_mov_b32_e32 v4, 0                                        // 00000000D010: 7E080280
	v_add_f32_e32 v4, v28, v4                                  // 00000000D014: 0208091C
	v_add_f32_e32 v4, v29, v4                                  // 00000000D018: 0208091D
	v_add_f32_e32 v4, v30, v4                                  // 00000000D01C: 0208091E
	v_add_f32_e32 v4, v31, v4                                  // 00000000D020: 0208091F
	v_mov_b32_e32 v28, 0                                       // 00000000D024: 7E380280
	v_cmp_eq_u32_e64 s[36:37], v28, v4                         // 00000000D028: D0CA0024 0002091C
	v_mul_f32_e64 v28, v2, s64                                 // 00000000D030: D105001C 00008102
	v_log_f32_e32 v29, v4                                      // 00000000D038: 7E3A4304
	s_nop 1                                                    // 00000000D03C: BF800001
	v_rcp_f32_e32 v4, v4                                       // 00000000D040: 7E084504
	s_nop 1                                                    // 00000000D044: BF800001
	v_fma_f32 v1, v29, s63, v28                                // 00000000D048: D1CB0001 04707F1D
	v_mul_f32_e32 v50, v4, v50                                 // 00000000D050: 0A646504
	v_mul_f32_e32 v51, v4, v51                                 // 00000000D054: 0A666704
	v_mul_f32_e32 v52, v4, v52                                 // 00000000D058: 0A686904
	v_mul_f32_e32 v53, v4, v53                                 // 00000000D05C: 0A6A6B04
	v_mul_f32_e32 v54, v4, v54                                 // 00000000D060: 0A6C6D04
	v_mul_f32_e32 v55, v4, v55                                 // 00000000D064: 0A6E6F04
	v_mul_f32_e32 v56, v4, v56                                 // 00000000D068: 0A707104
	v_mul_f32_e32 v57, v4, v57                                 // 00000000D06C: 0A727304
	v_mul_f32_e32 v58, v4, v58                                 // 00000000D070: 0A747504
	v_mul_f32_e32 v59, v4, v59                                 // 00000000D074: 0A767704
	v_mul_f32_e32 v60, v4, v60                                 // 00000000D078: 0A787904
	v_mul_f32_e32 v61, v4, v61                                 // 00000000D07C: 0A7A7B04
	v_mul_f32_e32 v62, v4, v62                                 // 00000000D080: 0A7C7D04
	v_mul_f32_e32 v63, v4, v63                                 // 00000000D084: 0A7E7F04
	v_mul_f32_e32 v64, v4, v64                                 // 00000000D088: 0A808104
	v_mul_f32_e32 v65, v4, v65                                 // 00000000D08C: 0A828304
	v_mul_f32_e32 v66, v4, v66                                 // 00000000D090: 0A848504
	v_mul_f32_e32 v67, v4, v67                                 // 00000000D094: 0A868704
	v_mul_f32_e32 v68, v4, v68                                 // 00000000D098: 0A888904
	v_mul_f32_e32 v69, v4, v69                                 // 00000000D09C: 0A8A8B04
	v_mul_f32_e32 v70, v4, v70                                 // 00000000D0A0: 0A8C8D04
	v_mul_f32_e32 v71, v4, v71                                 // 00000000D0A4: 0A8E8F04
	v_mul_f32_e32 v72, v4, v72                                 // 00000000D0A8: 0A909104
	v_mul_f32_e32 v73, v4, v73                                 // 00000000D0AC: 0A929304
	v_mul_f32_e32 v74, v4, v74                                 // 00000000D0B0: 0A949504
	v_mul_f32_e32 v75, v4, v75                                 // 00000000D0B4: 0A969704
	v_mul_f32_e32 v76, v4, v76                                 // 00000000D0B8: 0A989904
	v_mul_f32_e32 v77, v4, v77                                 // 00000000D0BC: 0A9A9B04
	v_mul_f32_e32 v78, v4, v78                                 // 00000000D0C0: 0A9C9D04
	v_mul_f32_e32 v79, v4, v79                                 // 00000000D0C4: 0A9E9F04
	v_mul_f32_e32 v80, v4, v80                                 // 00000000D0C8: 0AA0A104
	v_mul_f32_e32 v81, v4, v81                                 // 00000000D0CC: 0AA2A304
	v_mul_f32_e32 v82, v4, v82                                 // 00000000D0D0: 0AA4A504
	v_mul_f32_e32 v83, v4, v83                                 // 00000000D0D4: 0AA6A704
	v_mul_f32_e32 v84, v4, v84                                 // 00000000D0D8: 0AA8A904
	v_mul_f32_e32 v85, v4, v85                                 // 00000000D0DC: 0AAAAB04
	v_mul_f32_e32 v86, v4, v86                                 // 00000000D0E0: 0AACAD04
	v_mul_f32_e32 v87, v4, v87                                 // 00000000D0E4: 0AAEAF04
	v_mul_f32_e32 v88, v4, v88                                 // 00000000D0E8: 0AB0B104
	v_mul_f32_e32 v89, v4, v89                                 // 00000000D0EC: 0AB2B304
	v_mul_f32_e32 v90, v4, v90                                 // 00000000D0F0: 0AB4B504
	v_mul_f32_e32 v91, v4, v91                                 // 00000000D0F4: 0AB6B704
	v_mul_f32_e32 v92, v4, v92                                 // 00000000D0F8: 0AB8B904
	v_mul_f32_e32 v93, v4, v93                                 // 00000000D0FC: 0ABABB04
	v_mul_f32_e32 v94, v4, v94                                 // 00000000D100: 0ABCBD04
	v_mul_f32_e32 v95, v4, v95                                 // 00000000D104: 0ABEBF04
	v_mul_f32_e32 v96, v4, v96                                 // 00000000D108: 0AC0C104
	v_mul_f32_e32 v97, v4, v97                                 // 00000000D10C: 0AC2C304
	v_mul_f32_e32 v98, v4, v98                                 // 00000000D110: 0AC4C504
	v_mul_f32_e32 v99, v4, v99                                 // 00000000D114: 0AC6C704
	v_mul_f32_e32 v100, v4, v100                               // 00000000D118: 0AC8C904
	v_mul_f32_e32 v101, v4, v101                               // 00000000D11C: 0ACACB04
	v_mul_f32_e32 v102, v4, v102                               // 00000000D120: 0ACCCD04
	v_mul_f32_e32 v103, v4, v103                               // 00000000D124: 0ACECF04
	v_mul_f32_e32 v104, v4, v104                               // 00000000D128: 0AD0D104
	v_mul_f32_e32 v105, v4, v105                               // 00000000D12C: 0AD2D304
	v_mul_f32_e32 v106, v4, v106                               // 00000000D130: 0AD4D504
	v_mul_f32_e32 v107, v4, v107                               // 00000000D134: 0AD6D704
	v_mul_f32_e32 v108, v4, v108                               // 00000000D138: 0AD8D904
	v_mul_f32_e32 v109, v4, v109                               // 00000000D13C: 0ADADB04
	v_mul_f32_e32 v110, v4, v110                               // 00000000D140: 0ADCDD04
	v_mul_f32_e32 v111, v4, v111                               // 00000000D144: 0ADEDF04
	v_mul_f32_e32 v112, v4, v112                               // 00000000D148: 0AE0E104
	v_mul_f32_e32 v113, v4, v113                               // 00000000D14C: 0AE2E304
	v_mul_f32_e32 v114, v4, v114                               // 00000000D150: 0AE4E504
	v_mul_f32_e32 v115, v4, v115                               // 00000000D154: 0AE6E704
	v_mul_f32_e32 v116, v4, v116                               // 00000000D158: 0AE8E904
	v_mul_f32_e32 v117, v4, v117                               // 00000000D15C: 0AEAEB04
	v_mul_f32_e32 v118, v4, v118                               // 00000000D160: 0AECED04
	v_mul_f32_e32 v119, v4, v119                               // 00000000D164: 0AEEEF04
	v_mul_f32_e32 v120, v4, v120                               // 00000000D168: 0AF0F104
	v_mul_f32_e32 v121, v4, v121                               // 00000000D16C: 0AF2F304
	v_mul_f32_e32 v122, v4, v122                               // 00000000D170: 0AF4F504
	v_mul_f32_e32 v123, v4, v123                               // 00000000D174: 0AF6F704
	v_mul_f32_e32 v124, v4, v124                               // 00000000D178: 0AF8F904
	v_mul_f32_e32 v125, v4, v125                               // 00000000D17C: 0AFAFB04
	v_mul_f32_e32 v126, v4, v126                               // 00000000D180: 0AFCFD04
	v_mul_f32_e32 v127, v4, v127                               // 00000000D184: 0AFEFF04
	v_mul_f32_e32 v128, v4, v128                               // 00000000D188: 0B010104
	v_mul_f32_e32 v129, v4, v129                               // 00000000D18C: 0B030304
	v_mul_f32_e32 v130, v4, v130                               // 00000000D190: 0B050504
	v_mul_f32_e32 v131, v4, v131                               // 00000000D194: 0B070704
	v_mul_f32_e32 v132, v4, v132                               // 00000000D198: 0B090904
	v_mul_f32_e32 v133, v4, v133                               // 00000000D19C: 0B0B0B04
	v_mul_f32_e32 v134, v4, v134                               // 00000000D1A0: 0B0D0D04
	v_mul_f32_e32 v135, v4, v135                               // 00000000D1A4: 0B0F0F04
	v_mul_f32_e32 v136, v4, v136                               // 00000000D1A8: 0B111104
	v_mul_f32_e32 v137, v4, v137                               // 00000000D1AC: 0B131304
	v_mul_f32_e32 v138, v4, v138                               // 00000000D1B0: 0B151504
	v_mul_f32_e32 v139, v4, v139                               // 00000000D1B4: 0B171704
	v_mul_f32_e32 v140, v4, v140                               // 00000000D1B8: 0B191904
	v_mul_f32_e32 v141, v4, v141                               // 00000000D1BC: 0B1B1B04
	v_mul_f32_e32 v142, v4, v142                               // 00000000D1C0: 0B1D1D04
	v_mul_f32_e32 v143, v4, v143                               // 00000000D1C4: 0B1F1F04
	v_mul_f32_e32 v144, v4, v144                               // 00000000D1C8: 0B212104
	v_mul_f32_e32 v145, v4, v145                               // 00000000D1CC: 0B232304
	v_mul_f32_e32 v146, v4, v146                               // 00000000D1D0: 0B252504
	v_mul_f32_e32 v147, v4, v147                               // 00000000D1D4: 0B272704
	v_mul_f32_e32 v148, v4, v148                               // 00000000D1D8: 0B292904
	v_mul_f32_e32 v149, v4, v149                               // 00000000D1DC: 0B2B2B04
	v_mul_f32_e32 v150, v4, v150                               // 00000000D1E0: 0B2D2D04
	v_mul_f32_e32 v151, v4, v151                               // 00000000D1E4: 0B2F2F04
	v_mul_f32_e32 v152, v4, v152                               // 00000000D1E8: 0B313104
	v_mul_f32_e32 v153, v4, v153                               // 00000000D1EC: 0B333304
	v_mul_f32_e32 v154, v4, v154                               // 00000000D1F0: 0B353504
	v_mul_f32_e32 v155, v4, v155                               // 00000000D1F4: 0B373704
	v_mul_f32_e32 v156, v4, v156                               // 00000000D1F8: 0B393904
	v_mul_f32_e32 v157, v4, v157                               // 00000000D1FC: 0B3B3B04
	v_mul_f32_e32 v158, v4, v158                               // 00000000D200: 0B3D3D04
	v_mul_f32_e32 v159, v4, v159                               // 00000000D204: 0B3F3F04
	v_mul_f32_e32 v160, v4, v160                               // 00000000D208: 0B414104
	v_mul_f32_e32 v161, v4, v161                               // 00000000D20C: 0B434304
	v_mul_f32_e32 v162, v4, v162                               // 00000000D210: 0B454504
	v_mul_f32_e32 v163, v4, v163                               // 00000000D214: 0B474704
	v_mul_f32_e32 v164, v4, v164                               // 00000000D218: 0B494904
	v_mul_f32_e32 v165, v4, v165                               // 00000000D21C: 0B4B4B04
	v_mul_f32_e32 v166, v4, v166                               // 00000000D220: 0B4D4D04
	v_mul_f32_e32 v167, v4, v167                               // 00000000D224: 0B4F4F04
	v_mul_f32_e32 v168, v4, v168                               // 00000000D228: 0B515104
	v_mul_f32_e32 v169, v4, v169                               // 00000000D22C: 0B535304
	v_mul_f32_e32 v170, v4, v170                               // 00000000D230: 0B555504
	v_mul_f32_e32 v171, v4, v171                               // 00000000D234: 0B575704
	v_mul_f32_e32 v172, v4, v172                               // 00000000D238: 0B595904
	v_mul_f32_e32 v173, v4, v173                               // 00000000D23C: 0B5B5B04
	v_mul_f32_e32 v174, v4, v174                               // 00000000D240: 0B5D5D04
	v_mul_f32_e32 v175, v4, v175                               // 00000000D244: 0B5F5F04
	v_mul_f32_e32 v176, v4, v176                               // 00000000D248: 0B616104
	v_mul_f32_e32 v177, v4, v177                               // 00000000D24C: 0B636304
	s_cmp_eq_u32 s67, 1                                        // 00000000D250: BF068143
	s_cbranch_scc1 label_B6CC                                  // 00000000D254: BF8501DB
	s_mul_i32 s56, 0x800, 16                                   // 00000000D258: 923890FF 00000800
	s_mul_i32 s57, 0x400, 16                                   // 00000000D260: 923990FF 00000400
	s_cmp_eq_u32 s67, 1                                        // 00000000D268: BF068143
	s_cselect_b32 s75, s57, s56                                // 00000000D26C: 854B3839
	s_mul_i32 s94, s67, s75                                    // 00000000D270: 925E4B43
	s_mul_i32 s93, s92, s75                                    // 00000000D274: 925D4B5C
	s_lshr_b32 s56, s65, 4                                     // 00000000D278: 8F388441
	s_mul_i32 s56, s93, s56                                    // 00000000D27C: 9238385D
	s_mov_b32 s10, s56                                         // 00000000D280: BE8A0038
	s_mul_i32 s56, s3, s56                                     // 00000000D284: 92383803
	s_add_u32 s8, s56, s8                                      // 00000000D288: 80080838
	s_addc_u32 s9, 0, s9                                       // 00000000D28C: 82090980
	s_mul_i32 s56, s75, s7                                     // 00000000D290: 9238074B
	v_lshrrev_b32_e32 v28, 5, v0                               // 00000000D294: 20380085
	s_mov_b32 s57, 0x800                                       // 00000000D298: BEB900FF 00000800
	v_mul_i32_i24_e32 v28, s57, v28                            // 00000000D2A0: 0C383839
	v_and_b32_e32 v5, 31, v0                                   // 00000000D2A4: 260A009F
	v_lshlrev_b32_e32 v5, 4, v5                                // 00000000D2A8: 240A0A84
	v_add_u32_e32 v5, v5, v28                                  // 00000000D2AC: 680A3905
	v_add_u32_e64 v5, v5, s56                                  // 00000000D2B0: D1340005 00007105
	s_lshr_b32 s56, s65, 4                                     // 00000000D2B8: 8F388441
	s_mul_i32 s56, s75, s56                                    // 00000000D2BC: 9238384B
	s_mul_i32 s56, s4, s56                                     // 00000000D2C0: 92383804
	v_add_u32_e64 v5, v5, s56                                  // 00000000D2C4: D1340005 00007105
	s_mul_i32 s58, 4, 16                                       // 00000000D2CC: 923A9084
	s_mul_i32 s77, s67, s58                                    // 00000000D2D0: 924D3A43
	s_mul_i32 s57, s92, s58                                    // 00000000D2D4: 92393A5C
	s_lshr_b32 s56, s65, 4                                     // 00000000D2D8: 8F388441
	s_mul_i32 s56, s57, s56                                    // 00000000D2DC: 92383839
	s_mov_b32 s14, s56                                         // 00000000D2E0: BE8E0038
	s_mul_i32 s56, s3, s56                                     // 00000000D2E4: 92383803
	s_add_u32 s12, s56, s12                                    // 00000000D2E8: 800C0C38
	s_addc_u32 s13, 0, s13                                     // 00000000D2EC: 820D0D80
	v_and_b32_e32 v4, 15, v0                                   // 00000000D2F0: 2608008F
	v_lshlrev_b32_e32 v4, 2, v4                                // 00000000D2F4: 24080882
	s_mul_i32 s56, s7, s58                                     // 00000000D2F8: 92383A07
	v_add_u32_e64 v4, v4, s56                                  // 00000000D2FC: D1340004 00007104
	s_lshr_b32 s56, s65, 4                                     // 00000000D304: 8F388441
	s_mul_i32 s56, s58, s56                                    // 00000000D308: 9238383A
	s_mul_i32 s56, s4, s56                                     // 00000000D30C: 92383804
	v_add_u32_e64 v4, v4, s56                                  // 00000000D310: D1340004 00007104
	v_mov_b32_e32 v2, v5                                       // 00000000D318: 7E040305
	s_waitcnt vmcnt(0)                                         // 00000000D31C: BF8C0F70
	s_waitcnt lgkmcnt(0)                                       // 00000000D320: BF8CC07F
	v_lshlrev_b32_e32 v16, 2, v0                               // 00000000D324: 24200082
	s_mul_i32 s56, s7, 0x840                                   // 00000000D328: 9238FF07 00000840
	v_add_u32_e32 v16, s56, v16                                // 00000000D330: 68202038
	v_lshlrev_b32_e32 v16, 2, v16                              // 00000000D334: 24202082
	v_lshrrev_b32_e32 v28, 5, v0                               // 00000000D338: 20380085
	v_mul_i32_i24_e32 v3, 4, v28                               // 00000000D33C: 0C063884
	v_and_b32_e32 v28, 31, v0                                  // 00000000D340: 2638009F
	v_lshrrev_b32_e32 v28, 2, v28                              // 00000000D344: 20383882
	v_mul_i32_i24_e32 v28, 8, v28                              // 00000000D348: 0C383888
	v_add_u32_e32 v3, v28, v3                                  // 00000000D34C: 6806071C
	v_and_b32_e32 v28, 31, v0                                  // 00000000D350: 2638009F
	v_mul_i32_i24_e32 v28, 64, v28                             // 00000000D354: 0C3838C0
	v_add_u32_e32 v3, v28, v3                                  // 00000000D358: 6806071C
	s_mul_i32 s56, s7, 0x840                                   // 00000000D35C: 9238FF07 00000840
	v_add_u32_e32 v3, s56, v3                                  // 00000000D364: 68060638
	v_lshlrev_b32_e32 v3, 2, v3                                // 00000000D368: 24060682
	s_mul_i32 s56, 0, s94                                      // 00000000D36C: 92385E80
	v_add_u32_e64 v2, v2, s56                                  // 00000000D370: D1340002 00007102
	v_mov_b32_e32 v28, v50                                     // 00000000D378: 7E380332
	v_mov_b32_e32 v29, v51                                     // 00000000D37C: 7E3A0333
	v_mov_b32_e32 v30, v52                                     // 00000000D380: 7E3C0334
	v_mov_b32_e32 v31, v53                                     // 00000000D384: 7E3E0335
	ds_write_b128 v16, v[28:31]                                // 00000000D388: D9BE0000 00001C10
	v_mov_b32_e32 v28, v54                                     // 00000000D390: 7E380336
	v_mov_b32_e32 v29, v55                                     // 00000000D394: 7E3A0337
	v_mov_b32_e32 v30, v56                                     // 00000000D398: 7E3C0338
	v_mov_b32_e32 v31, v57                                     // 00000000D39C: 7E3E0339
	ds_write_b128 v16, v[28:31] offset:1056                    // 00000000D3A0: D9BE0420 00001C10
	v_mov_b32_e32 v28, v58                                     // 00000000D3A8: 7E38033A
	v_mov_b32_e32 v29, v59                                     // 00000000D3AC: 7E3A033B
	v_mov_b32_e32 v30, v60                                     // 00000000D3B0: 7E3C033C
	v_mov_b32_e32 v31, v61                                     // 00000000D3B4: 7E3E033D
	ds_write_b128 v16, v[28:31] offset:2112                    // 00000000D3B8: D9BE0840 00001C10
	v_mov_b32_e32 v28, v62                                     // 00000000D3C0: 7E38033E
	v_mov_b32_e32 v29, v63                                     // 00000000D3C4: 7E3A033F
	v_mov_b32_e32 v30, v64                                     // 00000000D3C8: 7E3C0340
	v_mov_b32_e32 v31, v65                                     // 00000000D3CC: 7E3E0341
	ds_write_b128 v16, v[28:31] offset:3168                    // 00000000D3D0: D9BE0C60 00001C10
	v_mov_b32_e32 v28, v66                                     // 00000000D3D8: 7E380342
	v_mov_b32_e32 v29, v67                                     // 00000000D3DC: 7E3A0343
	v_mov_b32_e32 v30, v68                                     // 00000000D3E0: 7E3C0344
	v_mov_b32_e32 v31, v69                                     // 00000000D3E4: 7E3E0345
	ds_write_b128 v16, v[28:31] offset:4224                    // 00000000D3E8: D9BE1080 00001C10
	v_mov_b32_e32 v28, v70                                     // 00000000D3F0: 7E380346
	v_mov_b32_e32 v29, v71                                     // 00000000D3F4: 7E3A0347
	v_mov_b32_e32 v30, v72                                     // 00000000D3F8: 7E3C0348
	v_mov_b32_e32 v31, v73                                     // 00000000D3FC: 7E3E0349
	ds_write_b128 v16, v[28:31] offset:5280                    // 00000000D400: D9BE14A0 00001C10
	v_mov_b32_e32 v28, v74                                     // 00000000D408: 7E38034A
	v_mov_b32_e32 v29, v75                                     // 00000000D40C: 7E3A034B
	v_mov_b32_e32 v30, v76                                     // 00000000D410: 7E3C034C
	v_mov_b32_e32 v31, v77                                     // 00000000D414: 7E3E034D
	ds_write_b128 v16, v[28:31] offset:6336                    // 00000000D418: D9BE18C0 00001C10
	v_mov_b32_e32 v28, v78                                     // 00000000D420: 7E38034E
	v_mov_b32_e32 v29, v79                                     // 00000000D424: 7E3A034F
	v_mov_b32_e32 v30, v80                                     // 00000000D428: 7E3C0350
	v_mov_b32_e32 v31, v81                                     // 00000000D42C: 7E3E0351
	ds_write_b128 v16, v[28:31] offset:7392                    // 00000000D430: D9BE1CE0 00001C10
	s_waitcnt lgkmcnt(4)                                       // 00000000D438: BF8CC47F
	ds_read_b128 v[50:53], v3                                  // 00000000D43C: D9FE0000 32000003
	ds_read_b128 v[54:57], v3 offset:32                        // 00000000D444: D9FE0020 36000003
	ds_read_b128 v[58:61], v3 offset:64                        // 00000000D44C: D9FE0040 3A000003
	ds_read_b128 v[62:65], v3 offset:96                        // 00000000D454: D9FE0060 3E000003
	s_waitcnt lgkmcnt(4)                                       // 00000000D45C: BF8CC47F
	ds_read_b128 v[66:69], v3 offset:128                       // 00000000D460: D9FE0080 42000003
	ds_read_b128 v[70:73], v3 offset:160                       // 00000000D468: D9FE00A0 46000003
	ds_read_b128 v[74:77], v3 offset:192                       // 00000000D470: D9FE00C0 4A000003
	ds_read_b128 v[78:81], v3 offset:224                       // 00000000D478: D9FE00E0 4E000003
	s_waitcnt lgkmcnt(0)                                       // 00000000D480: BF8CC07F
	v_mov_b32_e32 v5, v2                                       // 00000000D484: 7E0A0302
	buffer_store_dwordx4 v[50:53], v5, s[8:11], 0 offen        // 00000000D488: E07C1000 80023205
	v_add_u32_e32 v5, 0x1000, v5                               // 00000000D490: 680A0AFF 00001000
	buffer_store_dwordx4 v[54:57], v5, s[8:11], 0 offen        // 00000000D498: E07C1000 80023605
	v_add_u32_e32 v5, 0x1000, v5                               // 00000000D4A0: 680A0AFF 00001000
	buffer_store_dwordx4 v[58:61], v5, s[8:11], 0 offen        // 00000000D4A8: E07C1000 80023A05
	v_add_u32_e32 v5, 0x1000, v5                               // 00000000D4B0: 680A0AFF 00001000
	buffer_store_dwordx4 v[62:65], v5, s[8:11], 0 offen        // 00000000D4B8: E07C1000 80023E05
	v_add_u32_e32 v5, 0x1000, v5                               // 00000000D4C0: 680A0AFF 00001000
	buffer_store_dwordx4 v[66:69], v5, s[8:11], 0 offen        // 00000000D4C8: E07C1000 80024205
	v_add_u32_e32 v5, 0x1000, v5                               // 00000000D4D0: 680A0AFF 00001000
	buffer_store_dwordx4 v[70:73], v5, s[8:11], 0 offen        // 00000000D4D8: E07C1000 80024605
	v_add_u32_e32 v5, 0x1000, v5                               // 00000000D4E0: 680A0AFF 00001000
	buffer_store_dwordx4 v[74:77], v5, s[8:11], 0 offen        // 00000000D4E8: E07C1000 80024A05
	v_add_u32_e32 v5, 0x1000, v5                               // 00000000D4F0: 680A0AFF 00001000
	buffer_store_dwordx4 v[78:81], v5, s[8:11], 0 offen        // 00000000D4F8: E07C1000 80024E05
	v_add_u32_e32 v5, 0x1000, v5                               // 00000000D500: 680A0AFF 00001000
	v_mov_b32_e32 v28, v82                                     // 00000000D508: 7E380352
	v_mov_b32_e32 v29, v83                                     // 00000000D50C: 7E3A0353
	v_mov_b32_e32 v30, v84                                     // 00000000D510: 7E3C0354
	v_mov_b32_e32 v31, v85                                     // 00000000D514: 7E3E0355
	ds_write_b128 v16, v[28:31]                                // 00000000D518: D9BE0000 00001C10
	v_mov_b32_e32 v28, v86                                     // 00000000D520: 7E380356
	v_mov_b32_e32 v29, v87                                     // 00000000D524: 7E3A0357
	v_mov_b32_e32 v30, v88                                     // 00000000D528: 7E3C0358
	v_mov_b32_e32 v31, v89                                     // 00000000D52C: 7E3E0359
	ds_write_b128 v16, v[28:31] offset:1056                    // 00000000D530: D9BE0420 00001C10
	v_mov_b32_e32 v28, v90                                     // 00000000D538: 7E38035A
	v_mov_b32_e32 v29, v91                                     // 00000000D53C: 7E3A035B
	v_mov_b32_e32 v30, v92                                     // 00000000D540: 7E3C035C
	v_mov_b32_e32 v31, v93                                     // 00000000D544: 7E3E035D
	ds_write_b128 v16, v[28:31] offset:2112                    // 00000000D548: D9BE0840 00001C10
	v_mov_b32_e32 v28, v94                                     // 00000000D550: 7E38035E
	v_mov_b32_e32 v29, v95                                     // 00000000D554: 7E3A035F
	v_mov_b32_e32 v30, v96                                     // 00000000D558: 7E3C0360
	v_mov_b32_e32 v31, v97                                     // 00000000D55C: 7E3E0361
	ds_write_b128 v16, v[28:31] offset:3168                    // 00000000D560: D9BE0C60 00001C10
	v_mov_b32_e32 v28, v98                                     // 00000000D568: 7E380362
	v_mov_b32_e32 v29, v99                                     // 00000000D56C: 7E3A0363
	v_mov_b32_e32 v30, v100                                    // 00000000D570: 7E3C0364
	v_mov_b32_e32 v31, v101                                    // 00000000D574: 7E3E0365
	ds_write_b128 v16, v[28:31] offset:4224                    // 00000000D578: D9BE1080 00001C10
	v_mov_b32_e32 v28, v102                                    // 00000000D580: 7E380366
	v_mov_b32_e32 v29, v103                                    // 00000000D584: 7E3A0367
	v_mov_b32_e32 v30, v104                                    // 00000000D588: 7E3C0368
	v_mov_b32_e32 v31, v105                                    // 00000000D58C: 7E3E0369
	ds_write_b128 v16, v[28:31] offset:5280                    // 00000000D590: D9BE14A0 00001C10
	v_mov_b32_e32 v28, v106                                    // 00000000D598: 7E38036A
	v_mov_b32_e32 v29, v107                                    // 00000000D59C: 7E3A036B
	v_mov_b32_e32 v30, v108                                    // 00000000D5A0: 7E3C036C
	v_mov_b32_e32 v31, v109                                    // 00000000D5A4: 7E3E036D
	ds_write_b128 v16, v[28:31] offset:6336                    // 00000000D5A8: D9BE18C0 00001C10
	v_mov_b32_e32 v28, v110                                    // 00000000D5B0: 7E38036E
	v_mov_b32_e32 v29, v111                                    // 00000000D5B4: 7E3A036F
	v_mov_b32_e32 v30, v112                                    // 00000000D5B8: 7E3C0370
	v_mov_b32_e32 v31, v113                                    // 00000000D5BC: 7E3E0371
	ds_write_b128 v16, v[28:31] offset:7392                    // 00000000D5C0: D9BE1CE0 00001C10
	s_waitcnt lgkmcnt(4)                                       // 00000000D5C8: BF8CC47F
	ds_read_b128 v[50:53], v3                                  // 00000000D5CC: D9FE0000 32000003
	ds_read_b128 v[54:57], v3 offset:32                        // 00000000D5D4: D9FE0020 36000003
	ds_read_b128 v[58:61], v3 offset:64                        // 00000000D5DC: D9FE0040 3A000003
	ds_read_b128 v[62:65], v3 offset:96                        // 00000000D5E4: D9FE0060 3E000003
	s_waitcnt lgkmcnt(4)                                       // 00000000D5EC: BF8CC47F
	ds_read_b128 v[66:69], v3 offset:128                       // 00000000D5F0: D9FE0080 42000003
	ds_read_b128 v[70:73], v3 offset:160                       // 00000000D5F8: D9FE00A0 46000003
	ds_read_b128 v[74:77], v3 offset:192                       // 00000000D600: D9FE00C0 4A000003
	ds_read_b128 v[78:81], v3 offset:224                       // 00000000D608: D9FE00E0 4E000003
	s_waitcnt lgkmcnt(0)                                       // 00000000D610: BF8CC07F
	v_mov_b32_e32 v5, v2                                       // 00000000D614: 7E0A0302
	buffer_store_dwordx4 v[50:53], v5, s[8:11], 0 offen offset:512// 00000000D618: E07C1200 80023205
	v_add_u32_e32 v5, 0x1000, v5                               // 00000000D620: 680A0AFF 00001000
	buffer_store_dwordx4 v[54:57], v5, s[8:11], 0 offen offset:512// 00000000D628: E07C1200 80023605
	v_add_u32_e32 v5, 0x1000, v5                               // 00000000D630: 680A0AFF 00001000
	buffer_store_dwordx4 v[58:61], v5, s[8:11], 0 offen offset:512// 00000000D638: E07C1200 80023A05
	v_add_u32_e32 v5, 0x1000, v5                               // 00000000D640: 680A0AFF 00001000
	buffer_store_dwordx4 v[62:65], v5, s[8:11], 0 offen offset:512// 00000000D648: E07C1200 80023E05
	v_add_u32_e32 v5, 0x1000, v5                               // 00000000D650: 680A0AFF 00001000
	buffer_store_dwordx4 v[66:69], v5, s[8:11], 0 offen offset:512// 00000000D658: E07C1200 80024205
	v_add_u32_e32 v5, 0x1000, v5                               // 00000000D660: 680A0AFF 00001000
	buffer_store_dwordx4 v[70:73], v5, s[8:11], 0 offen offset:512// 00000000D668: E07C1200 80024605
	v_add_u32_e32 v5, 0x1000, v5                               // 00000000D670: 680A0AFF 00001000
	buffer_store_dwordx4 v[74:77], v5, s[8:11], 0 offen offset:512// 00000000D678: E07C1200 80024A05
	v_add_u32_e32 v5, 0x1000, v5                               // 00000000D680: 680A0AFF 00001000
	buffer_store_dwordx4 v[78:81], v5, s[8:11], 0 offen offset:512// 00000000D688: E07C1200 80024E05
	v_add_u32_e32 v5, 0x1000, v5                               // 00000000D690: 680A0AFF 00001000
	v_mov_b32_e32 v28, v114                                    // 00000000D698: 7E380372
	v_mov_b32_e32 v29, v115                                    // 00000000D69C: 7E3A0373
	v_mov_b32_e32 v30, v116                                    // 00000000D6A0: 7E3C0374
	v_mov_b32_e32 v31, v117                                    // 00000000D6A4: 7E3E0375
	ds_write_b128 v16, v[28:31]                                // 00000000D6A8: D9BE0000 00001C10
	v_mov_b32_e32 v28, v118                                    // 00000000D6B0: 7E380376
	v_mov_b32_e32 v29, v119                                    // 00000000D6B4: 7E3A0377
	v_mov_b32_e32 v30, v120                                    // 00000000D6B8: 7E3C0378
	v_mov_b32_e32 v31, v121                                    // 00000000D6BC: 7E3E0379
	ds_write_b128 v16, v[28:31] offset:1056                    // 00000000D6C0: D9BE0420 00001C10
	v_mov_b32_e32 v28, v122                                    // 00000000D6C8: 7E38037A
	v_mov_b32_e32 v29, v123                                    // 00000000D6CC: 7E3A037B
	v_mov_b32_e32 v30, v124                                    // 00000000D6D0: 7E3C037C
	v_mov_b32_e32 v31, v125                                    // 00000000D6D4: 7E3E037D
	ds_write_b128 v16, v[28:31] offset:2112                    // 00000000D6D8: D9BE0840 00001C10
	v_mov_b32_e32 v28, v126                                    // 00000000D6E0: 7E38037E
	v_mov_b32_e32 v29, v127                                    // 00000000D6E4: 7E3A037F
	v_mov_b32_e32 v30, v128                                    // 00000000D6E8: 7E3C0380
	v_mov_b32_e32 v31, v129                                    // 00000000D6EC: 7E3E0381
	ds_write_b128 v16, v[28:31] offset:3168                    // 00000000D6F0: D9BE0C60 00001C10
	v_mov_b32_e32 v28, v130                                    // 00000000D6F8: 7E380382
	v_mov_b32_e32 v29, v131                                    // 00000000D6FC: 7E3A0383
	v_mov_b32_e32 v30, v132                                    // 00000000D700: 7E3C0384
	v_mov_b32_e32 v31, v133                                    // 00000000D704: 7E3E0385
	ds_write_b128 v16, v[28:31] offset:4224                    // 00000000D708: D9BE1080 00001C10
	v_mov_b32_e32 v28, v134                                    // 00000000D710: 7E380386
	v_mov_b32_e32 v29, v135                                    // 00000000D714: 7E3A0387
	v_mov_b32_e32 v30, v136                                    // 00000000D718: 7E3C0388
	v_mov_b32_e32 v31, v137                                    // 00000000D71C: 7E3E0389
	ds_write_b128 v16, v[28:31] offset:5280                    // 00000000D720: D9BE14A0 00001C10
	v_mov_b32_e32 v28, v138                                    // 00000000D728: 7E38038A
	v_mov_b32_e32 v29, v139                                    // 00000000D72C: 7E3A038B
	v_mov_b32_e32 v30, v140                                    // 00000000D730: 7E3C038C
	v_mov_b32_e32 v31, v141                                    // 00000000D734: 7E3E038D
	ds_write_b128 v16, v[28:31] offset:6336                    // 00000000D738: D9BE18C0 00001C10
	v_mov_b32_e32 v28, v142                                    // 00000000D740: 7E38038E
	v_mov_b32_e32 v29, v143                                    // 00000000D744: 7E3A038F
	v_mov_b32_e32 v30, v144                                    // 00000000D748: 7E3C0390
	v_mov_b32_e32 v31, v145                                    // 00000000D74C: 7E3E0391
	ds_write_b128 v16, v[28:31] offset:7392                    // 00000000D750: D9BE1CE0 00001C10
	s_waitcnt lgkmcnt(4)                                       // 00000000D758: BF8CC47F
	ds_read_b128 v[50:53], v3                                  // 00000000D75C: D9FE0000 32000003
	ds_read_b128 v[54:57], v3 offset:32                        // 00000000D764: D9FE0020 36000003
	ds_read_b128 v[58:61], v3 offset:64                        // 00000000D76C: D9FE0040 3A000003
	ds_read_b128 v[62:65], v3 offset:96                        // 00000000D774: D9FE0060 3E000003
	s_waitcnt lgkmcnt(4)                                       // 00000000D77C: BF8CC47F
	ds_read_b128 v[66:69], v3 offset:128                       // 00000000D780: D9FE0080 42000003
	ds_read_b128 v[70:73], v3 offset:160                       // 00000000D788: D9FE00A0 46000003
	ds_read_b128 v[74:77], v3 offset:192                       // 00000000D790: D9FE00C0 4A000003
	ds_read_b128 v[78:81], v3 offset:224                       // 00000000D798: D9FE00E0 4E000003
	s_waitcnt lgkmcnt(0)                                       // 00000000D7A0: BF8CC07F
	v_mov_b32_e32 v5, v2                                       // 00000000D7A4: 7E0A0302
	buffer_store_dwordx4 v[50:53], v5, s[8:11], 0 offen offset:1024// 00000000D7A8: E07C1400 80023205
	v_add_u32_e32 v5, 0x1000, v5                               // 00000000D7B0: 680A0AFF 00001000
	buffer_store_dwordx4 v[54:57], v5, s[8:11], 0 offen offset:1024// 00000000D7B8: E07C1400 80023605
	v_add_u32_e32 v5, 0x1000, v5                               // 00000000D7C0: 680A0AFF 00001000
	buffer_store_dwordx4 v[58:61], v5, s[8:11], 0 offen offset:1024// 00000000D7C8: E07C1400 80023A05
	v_add_u32_e32 v5, 0x1000, v5                               // 00000000D7D0: 680A0AFF 00001000
	buffer_store_dwordx4 v[62:65], v5, s[8:11], 0 offen offset:1024// 00000000D7D8: E07C1400 80023E05
	v_add_u32_e32 v5, 0x1000, v5                               // 00000000D7E0: 680A0AFF 00001000
	buffer_store_dwordx4 v[66:69], v5, s[8:11], 0 offen offset:1024// 00000000D7E8: E07C1400 80024205
	v_add_u32_e32 v5, 0x1000, v5                               // 00000000D7F0: 680A0AFF 00001000
	buffer_store_dwordx4 v[70:73], v5, s[8:11], 0 offen offset:1024// 00000000D7F8: E07C1400 80024605
	v_add_u32_e32 v5, 0x1000, v5                               // 00000000D800: 680A0AFF 00001000
	buffer_store_dwordx4 v[74:77], v5, s[8:11], 0 offen offset:1024// 00000000D808: E07C1400 80024A05
	v_add_u32_e32 v5, 0x1000, v5                               // 00000000D810: 680A0AFF 00001000
	buffer_store_dwordx4 v[78:81], v5, s[8:11], 0 offen offset:1024// 00000000D818: E07C1400 80024E05
	v_add_u32_e32 v5, 0x1000, v5                               // 00000000D820: 680A0AFF 00001000
	v_mov_b32_e32 v28, v146                                    // 00000000D828: 7E380392
	v_mov_b32_e32 v29, v147                                    // 00000000D82C: 7E3A0393
	v_mov_b32_e32 v30, v148                                    // 00000000D830: 7E3C0394
	v_mov_b32_e32 v31, v149                                    // 00000000D834: 7E3E0395
	ds_write_b128 v16, v[28:31]                                // 00000000D838: D9BE0000 00001C10
	v_mov_b32_e32 v28, v150                                    // 00000000D840: 7E380396
	v_mov_b32_e32 v29, v151                                    // 00000000D844: 7E3A0397
	v_mov_b32_e32 v30, v152                                    // 00000000D848: 7E3C0398
	v_mov_b32_e32 v31, v153                                    // 00000000D84C: 7E3E0399
	ds_write_b128 v16, v[28:31] offset:1056                    // 00000000D850: D9BE0420 00001C10
	v_mov_b32_e32 v28, v154                                    // 00000000D858: 7E38039A
	v_mov_b32_e32 v29, v155                                    // 00000000D85C: 7E3A039B
	v_mov_b32_e32 v30, v156                                    // 00000000D860: 7E3C039C
	v_mov_b32_e32 v31, v157                                    // 00000000D864: 7E3E039D
	ds_write_b128 v16, v[28:31] offset:2112                    // 00000000D868: D9BE0840 00001C10
	v_mov_b32_e32 v28, v158                                    // 00000000D870: 7E38039E
	v_mov_b32_e32 v29, v159                                    // 00000000D874: 7E3A039F
	v_mov_b32_e32 v30, v160                                    // 00000000D878: 7E3C03A0
	v_mov_b32_e32 v31, v161                                    // 00000000D87C: 7E3E03A1
	ds_write_b128 v16, v[28:31] offset:3168                    // 00000000D880: D9BE0C60 00001C10
	v_mov_b32_e32 v28, v162                                    // 00000000D888: 7E3803A2
	v_mov_b32_e32 v29, v163                                    // 00000000D88C: 7E3A03A3
	v_mov_b32_e32 v30, v164                                    // 00000000D890: 7E3C03A4
	v_mov_b32_e32 v31, v165                                    // 00000000D894: 7E3E03A5
	ds_write_b128 v16, v[28:31] offset:4224                    // 00000000D898: D9BE1080 00001C10
	v_mov_b32_e32 v28, v166                                    // 00000000D8A0: 7E3803A6
	v_mov_b32_e32 v29, v167                                    // 00000000D8A4: 7E3A03A7
	v_mov_b32_e32 v30, v168                                    // 00000000D8A8: 7E3C03A8
	v_mov_b32_e32 v31, v169                                    // 00000000D8AC: 7E3E03A9
	ds_write_b128 v16, v[28:31] offset:5280                    // 00000000D8B0: D9BE14A0 00001C10
	v_mov_b32_e32 v28, v170                                    // 00000000D8B8: 7E3803AA
	v_mov_b32_e32 v29, v171                                    // 00000000D8BC: 7E3A03AB
	v_mov_b32_e32 v30, v172                                    // 00000000D8C0: 7E3C03AC
	v_mov_b32_e32 v31, v173                                    // 00000000D8C4: 7E3E03AD
	ds_write_b128 v16, v[28:31] offset:6336                    // 00000000D8C8: D9BE18C0 00001C10
	v_mov_b32_e32 v28, v174                                    // 00000000D8D0: 7E3803AE
	v_mov_b32_e32 v29, v175                                    // 00000000D8D4: 7E3A03AF
	v_mov_b32_e32 v30, v176                                    // 00000000D8D8: 7E3C03B0
	v_mov_b32_e32 v31, v177                                    // 00000000D8DC: 7E3E03B1
	ds_write_b128 v16, v[28:31] offset:7392                    // 00000000D8E0: D9BE1CE0 00001C10
	s_waitcnt lgkmcnt(4)                                       // 00000000D8E8: BF8CC47F
	ds_read_b128 v[50:53], v3                                  // 00000000D8EC: D9FE0000 32000003
	ds_read_b128 v[54:57], v3 offset:32                        // 00000000D8F4: D9FE0020 36000003
	ds_read_b128 v[58:61], v3 offset:64                        // 00000000D8FC: D9FE0040 3A000003
	ds_read_b128 v[62:65], v3 offset:96                        // 00000000D904: D9FE0060 3E000003
	s_waitcnt lgkmcnt(4)                                       // 00000000D90C: BF8CC47F
	ds_read_b128 v[66:69], v3 offset:128                       // 00000000D910: D9FE0080 42000003
	ds_read_b128 v[70:73], v3 offset:160                       // 00000000D918: D9FE00A0 46000003
	ds_read_b128 v[74:77], v3 offset:192                       // 00000000D920: D9FE00C0 4A000003
	ds_read_b128 v[78:81], v3 offset:224                       // 00000000D928: D9FE00E0 4E000003
	s_waitcnt lgkmcnt(0)                                       // 00000000D930: BF8CC07F
	v_mov_b32_e32 v5, v2                                       // 00000000D934: 7E0A0302
	buffer_store_dwordx4 v[50:53], v5, s[8:11], 0 offen offset:1536// 00000000D938: E07C1600 80023205
	v_add_u32_e32 v5, 0x1000, v5                               // 00000000D940: 680A0AFF 00001000
	buffer_store_dwordx4 v[54:57], v5, s[8:11], 0 offen offset:1536// 00000000D948: E07C1600 80023605
	v_add_u32_e32 v5, 0x1000, v5                               // 00000000D950: 680A0AFF 00001000
	buffer_store_dwordx4 v[58:61], v5, s[8:11], 0 offen offset:1536// 00000000D958: E07C1600 80023A05
	v_add_u32_e32 v5, 0x1000, v5                               // 00000000D960: 680A0AFF 00001000
	buffer_store_dwordx4 v[62:65], v5, s[8:11], 0 offen offset:1536// 00000000D968: E07C1600 80023E05
	v_add_u32_e32 v5, 0x1000, v5                               // 00000000D970: 680A0AFF 00001000
	buffer_store_dwordx4 v[66:69], v5, s[8:11], 0 offen offset:1536// 00000000D978: E07C1600 80024205
	v_add_u32_e32 v5, 0x1000, v5                               // 00000000D980: 680A0AFF 00001000
	buffer_store_dwordx4 v[70:73], v5, s[8:11], 0 offen offset:1536// 00000000D988: E07C1600 80024605
	v_add_u32_e32 v5, 0x1000, v5                               // 00000000D990: 680A0AFF 00001000
	buffer_store_dwordx4 v[74:77], v5, s[8:11], 0 offen offset:1536// 00000000D998: E07C1600 80024A05
	v_add_u32_e32 v5, 0x1000, v5                               // 00000000D9A0: 680A0AFF 00001000
	buffer_store_dwordx4 v[78:81], v5, s[8:11], 0 offen offset:1536// 00000000D9A8: E07C1600 80024E05
	v_add_u32_e32 v5, 0x1000, v5                               // 00000000D9B0: 680A0AFF 00001000
	buffer_store_dword v1, v4, s[12:15], 0 offen               // 00000000D9B8: E0701000 80030104
	s_branch label_BE5C                                        // 00000000D9C0: BF8201E4

000000000000d9c4 <label_B6CC>:
	s_mul_i32 s56, 0x800, 16                                   // 00000000D9C4: 923890FF 00000800
	s_mul_i32 s57, 0x400, 16                                   // 00000000D9CC: 923990FF 00000400
	s_cmp_eq_u32 s67, 1                                        // 00000000D9D4: BF068143
	s_cselect_b32 s75, s57, s56                                // 00000000D9D8: 854B3839
	s_mul_i32 s94, s67, s75                                    // 00000000D9DC: 925E4B43
	s_mul_i32 s93, s92, s75                                    // 00000000D9E0: 925D4B5C
	s_lshr_b32 s56, s65, 4                                     // 00000000D9E4: 8F388441
	s_mul_i32 s56, s93, s56                                    // 00000000D9E8: 9238385D
	s_mov_b32 s10, s56                                         // 00000000D9EC: BE8A0038
	s_mul_i32 s56, s3, s56                                     // 00000000D9F0: 92383803
	s_add_u32 s8, s56, s8                                      // 00000000D9F4: 80080838
	s_addc_u32 s9, 0, s9                                       // 00000000D9F8: 82090980
	s_mul_i32 s56, s75, s7                                     // 00000000D9FC: 9238074B
	v_lshrrev_b32_e32 v28, 5, v0                               // 00000000DA00: 20380085
	s_mov_b32 s57, 0x800                                       // 00000000DA04: BEB900FF 00000800
	v_mul_i32_i24_e32 v28, s57, v28                            // 00000000DA0C: 0C383839
	v_and_b32_e32 v5, 31, v0                                   // 00000000DA10: 260A009F
	v_lshlrev_b32_e32 v5, 4, v5                                // 00000000DA14: 240A0A84
	v_add_u32_e32 v5, v5, v28                                  // 00000000DA18: 680A3905
	v_add_u32_e64 v5, v5, s56                                  // 00000000DA1C: D1340005 00007105
	s_lshr_b32 s56, s65, 4                                     // 00000000DA24: 8F388441
	s_mul_i32 s56, s75, s56                                    // 00000000DA28: 9238384B
	s_mul_i32 s56, s4, s56                                     // 00000000DA2C: 92383804
	v_add_u32_e64 v5, v5, s56                                  // 00000000DA30: D1340005 00007105
	v_lshlrev_b32_e32 v2, 3, v0                                // 00000000DA38: 24040083
	s_mov_b32 s56, 0x5000                                      // 00000000DA3C: BEB800FF 00005000
	s_mul_i32 s56, s7, s56                                     // 00000000DA44: 92383807
	v_add_u32_e32 v2, s56, v2                                  // 00000000DA48: 68040438
	v_cvt_pk_bf16_f32 v50, v50, v51                            // 00000000DA4C: D2680032 00026732
	v_cvt_pk_bf16_f32 v51, v52, v53                            // 00000000DA54: D2680033 00026B34
	v_cvt_pk_bf16_f32 v52, v54, v55                            // 00000000DA5C: D2680034 00026F36
	v_cvt_pk_bf16_f32 v53, v56, v57                            // 00000000DA64: D2680035 00027338
	v_cvt_pk_bf16_f32 v54, v58, v59                            // 00000000DA6C: D2680036 0002773A
	v_cvt_pk_bf16_f32 v55, v60, v61                            // 00000000DA74: D2680037 00027B3C
	v_cvt_pk_bf16_f32 v56, v62, v63                            // 00000000DA7C: D2680038 00027F3E
	v_cvt_pk_bf16_f32 v57, v64, v65                            // 00000000DA84: D2680039 00028340
	v_cvt_pk_bf16_f32 v58, v66, v67                            // 00000000DA8C: D268003A 00028742
	v_cvt_pk_bf16_f32 v59, v68, v69                            // 00000000DA94: D268003B 00028B44
	v_cvt_pk_bf16_f32 v60, v70, v71                            // 00000000DA9C: D268003C 00028F46
	v_cvt_pk_bf16_f32 v61, v72, v73                            // 00000000DAA4: D268003D 00029348
	v_cvt_pk_bf16_f32 v62, v74, v75                            // 00000000DAAC: D268003E 0002974A
	v_cvt_pk_bf16_f32 v63, v76, v77                            // 00000000DAB4: D268003F 00029B4C
	v_cvt_pk_bf16_f32 v64, v78, v79                            // 00000000DABC: D2680040 00029F4E
	v_cvt_pk_bf16_f32 v65, v80, v81                            // 00000000DAC4: D2680041 0002A350
	ds_write_b64 v2, v[50:51]                                  // 00000000DACC: D89A0000 00003202
	s_mov_b32 s56, 0x208                                       // 00000000DAD4: BEB800FF 00000208
	v_add_u32_e32 v2, s56, v2                                  // 00000000DADC: 68040438
	ds_write_b64 v2, v[52:53]                                  // 00000000DAE0: D89A0000 00003402
	s_mov_b32 s56, 0x208                                       // 00000000DAE8: BEB800FF 00000208
	v_add_u32_e32 v2, s56, v2                                  // 00000000DAF0: 68040438
	ds_write_b64 v2, v[54:55]                                  // 00000000DAF4: D89A0000 00003602
	s_mov_b32 s56, 0x208                                       // 00000000DAFC: BEB800FF 00000208
	v_add_u32_e32 v2, s56, v2                                  // 00000000DB04: 68040438
	ds_write_b64 v2, v[56:57]                                  // 00000000DB08: D89A0000 00003802
	s_mov_b32 s56, 0x208                                       // 00000000DB10: BEB800FF 00000208
	v_add_u32_e32 v2, s56, v2                                  // 00000000DB18: 68040438
	ds_write_b64 v2, v[58:59]                                  // 00000000DB1C: D89A0000 00003A02
	s_mov_b32 s56, 0x208                                       // 00000000DB24: BEB800FF 00000208
	v_add_u32_e32 v2, s56, v2                                  // 00000000DB2C: 68040438
	ds_write_b64 v2, v[60:61]                                  // 00000000DB30: D89A0000 00003C02
	s_mov_b32 s56, 0x208                                       // 00000000DB38: BEB800FF 00000208
	v_add_u32_e32 v2, s56, v2                                  // 00000000DB40: 68040438
	ds_write_b64 v2, v[62:63]                                  // 00000000DB44: D89A0000 00003E02
	s_mov_b32 s56, 0x208                                       // 00000000DB4C: BEB800FF 00000208
	v_add_u32_e32 v2, s56, v2                                  // 00000000DB54: 68040438
	ds_write_b64 v2, v[64:65]                                  // 00000000DB58: D89A0000 00004002
	s_mov_b32 s56, 0x208                                       // 00000000DB60: BEB800FF 00000208
	v_add_u32_e32 v2, s56, v2                                  // 00000000DB68: 68040438
	v_cvt_pk_bf16_f32 v50, v82, v83                            // 00000000DB6C: D2680032 0002A752
	v_cvt_pk_bf16_f32 v51, v84, v85                            // 00000000DB74: D2680033 0002AB54
	v_cvt_pk_bf16_f32 v52, v86, v87                            // 00000000DB7C: D2680034 0002AF56
	v_cvt_pk_bf16_f32 v53, v88, v89                            // 00000000DB84: D2680035 0002B358
	v_cvt_pk_bf16_f32 v54, v90, v91                            // 00000000DB8C: D2680036 0002B75A
	v_cvt_pk_bf16_f32 v55, v92, v93                            // 00000000DB94: D2680037 0002BB5C
	v_cvt_pk_bf16_f32 v56, v94, v95                            // 00000000DB9C: D2680038 0002BF5E
	v_cvt_pk_bf16_f32 v57, v96, v97                            // 00000000DBA4: D2680039 0002C360
	v_cvt_pk_bf16_f32 v58, v98, v99                            // 00000000DBAC: D268003A 0002C762
	v_cvt_pk_bf16_f32 v59, v100, v101                          // 00000000DBB4: D268003B 0002CB64
	v_cvt_pk_bf16_f32 v60, v102, v103                          // 00000000DBBC: D268003C 0002CF66
	v_cvt_pk_bf16_f32 v61, v104, v105                          // 00000000DBC4: D268003D 0002D368
	v_cvt_pk_bf16_f32 v62, v106, v107                          // 00000000DBCC: D268003E 0002D76A
	v_cvt_pk_bf16_f32 v63, v108, v109                          // 00000000DBD4: D268003F 0002DB6C
	v_cvt_pk_bf16_f32 v64, v110, v111                          // 00000000DBDC: D2680040 0002DF6E
	v_cvt_pk_bf16_f32 v65, v112, v113                          // 00000000DBE4: D2680041 0002E370
	ds_write_b64 v2, v[50:51]                                  // 00000000DBEC: D89A0000 00003202
	s_mov_b32 s56, 0x208                                       // 00000000DBF4: BEB800FF 00000208
	v_add_u32_e32 v2, s56, v2                                  // 00000000DBFC: 68040438
	ds_write_b64 v2, v[52:53]                                  // 00000000DC00: D89A0000 00003402
	s_mov_b32 s56, 0x208                                       // 00000000DC08: BEB800FF 00000208
	v_add_u32_e32 v2, s56, v2                                  // 00000000DC10: 68040438
	ds_write_b64 v2, v[54:55]                                  // 00000000DC14: D89A0000 00003602
	s_mov_b32 s56, 0x208                                       // 00000000DC1C: BEB800FF 00000208
	v_add_u32_e32 v2, s56, v2                                  // 00000000DC24: 68040438
	ds_write_b64 v2, v[56:57]                                  // 00000000DC28: D89A0000 00003802
	s_mov_b32 s56, 0x208                                       // 00000000DC30: BEB800FF 00000208
	v_add_u32_e32 v2, s56, v2                                  // 00000000DC38: 68040438
	ds_write_b64 v2, v[58:59]                                  // 00000000DC3C: D89A0000 00003A02
	s_mov_b32 s56, 0x208                                       // 00000000DC44: BEB800FF 00000208
	v_add_u32_e32 v2, s56, v2                                  // 00000000DC4C: 68040438
	ds_write_b64 v2, v[60:61]                                  // 00000000DC50: D89A0000 00003C02
	s_mov_b32 s56, 0x208                                       // 00000000DC58: BEB800FF 00000208
	v_add_u32_e32 v2, s56, v2                                  // 00000000DC60: 68040438
	ds_write_b64 v2, v[62:63]                                  // 00000000DC64: D89A0000 00003E02
	s_mov_b32 s56, 0x208                                       // 00000000DC6C: BEB800FF 00000208
	v_add_u32_e32 v2, s56, v2                                  // 00000000DC74: 68040438
	ds_write_b64 v2, v[64:65]                                  // 00000000DC78: D89A0000 00004002
	s_mov_b32 s56, 0x208                                       // 00000000DC80: BEB800FF 00000208
	v_add_u32_e32 v2, s56, v2                                  // 00000000DC88: 68040438
	v_cvt_pk_bf16_f32 v50, v114, v115                          // 00000000DC8C: D2680032 0002E772
	v_cvt_pk_bf16_f32 v51, v116, v117                          // 00000000DC94: D2680033 0002EB74
	v_cvt_pk_bf16_f32 v52, v118, v119                          // 00000000DC9C: D2680034 0002EF76
	v_cvt_pk_bf16_f32 v53, v120, v121                          // 00000000DCA4: D2680035 0002F378
	v_cvt_pk_bf16_f32 v54, v122, v123                          // 00000000DCAC: D2680036 0002F77A
	v_cvt_pk_bf16_f32 v55, v124, v125                          // 00000000DCB4: D2680037 0002FB7C
	v_cvt_pk_bf16_f32 v56, v126, v127                          // 00000000DCBC: D2680038 0002FF7E
	v_cvt_pk_bf16_f32 v57, v128, v129                          // 00000000DCC4: D2680039 00030380
	v_cvt_pk_bf16_f32 v58, v130, v131                          // 00000000DCCC: D268003A 00030782
	v_cvt_pk_bf16_f32 v59, v132, v133                          // 00000000DCD4: D268003B 00030B84
	v_cvt_pk_bf16_f32 v60, v134, v135                          // 00000000DCDC: D268003C 00030F86
	v_cvt_pk_bf16_f32 v61, v136, v137                          // 00000000DCE4: D268003D 00031388
	v_cvt_pk_bf16_f32 v62, v138, v139                          // 00000000DCEC: D268003E 0003178A
	v_cvt_pk_bf16_f32 v63, v140, v141                          // 00000000DCF4: D268003F 00031B8C
	v_cvt_pk_bf16_f32 v64, v142, v143                          // 00000000DCFC: D2680040 00031F8E
	v_cvt_pk_bf16_f32 v65, v144, v145                          // 00000000DD04: D2680041 00032390
	ds_write_b64 v2, v[50:51]                                  // 00000000DD0C: D89A0000 00003202
	s_mov_b32 s56, 0x208                                       // 00000000DD14: BEB800FF 00000208
	v_add_u32_e32 v2, s56, v2                                  // 00000000DD1C: 68040438
	ds_write_b64 v2, v[52:53]                                  // 00000000DD20: D89A0000 00003402
	s_mov_b32 s56, 0x208                                       // 00000000DD28: BEB800FF 00000208
	v_add_u32_e32 v2, s56, v2                                  // 00000000DD30: 68040438
	ds_write_b64 v2, v[54:55]                                  // 00000000DD34: D89A0000 00003602
	s_mov_b32 s56, 0x208                                       // 00000000DD3C: BEB800FF 00000208
	v_add_u32_e32 v2, s56, v2                                  // 00000000DD44: 68040438
	ds_write_b64 v2, v[56:57]                                  // 00000000DD48: D89A0000 00003802
	s_mov_b32 s56, 0x208                                       // 00000000DD50: BEB800FF 00000208
	v_add_u32_e32 v2, s56, v2                                  // 00000000DD58: 68040438
	ds_write_b64 v2, v[58:59]                                  // 00000000DD5C: D89A0000 00003A02
	s_mov_b32 s56, 0x208                                       // 00000000DD64: BEB800FF 00000208
	v_add_u32_e32 v2, s56, v2                                  // 00000000DD6C: 68040438
	ds_write_b64 v2, v[60:61]                                  // 00000000DD70: D89A0000 00003C02
	s_mov_b32 s56, 0x208                                       // 00000000DD78: BEB800FF 00000208
	v_add_u32_e32 v2, s56, v2                                  // 00000000DD80: 68040438
	ds_write_b64 v2, v[62:63]                                  // 00000000DD84: D89A0000 00003E02
	s_mov_b32 s56, 0x208                                       // 00000000DD8C: BEB800FF 00000208
	v_add_u32_e32 v2, s56, v2                                  // 00000000DD94: 68040438
	ds_write_b64 v2, v[64:65]                                  // 00000000DD98: D89A0000 00004002
	s_mov_b32 s56, 0x208                                       // 00000000DDA0: BEB800FF 00000208
	v_add_u32_e32 v2, s56, v2                                  // 00000000DDA8: 68040438
	v_cvt_pk_bf16_f32 v50, v146, v147                          // 00000000DDAC: D2680032 00032792
	v_cvt_pk_bf16_f32 v51, v148, v149                          // 00000000DDB4: D2680033 00032B94
	v_cvt_pk_bf16_f32 v52, v150, v151                          // 00000000DDBC: D2680034 00032F96
	v_cvt_pk_bf16_f32 v53, v152, v153                          // 00000000DDC4: D2680035 00033398
	v_cvt_pk_bf16_f32 v54, v154, v155                          // 00000000DDCC: D2680036 0003379A
	v_cvt_pk_bf16_f32 v55, v156, v157                          // 00000000DDD4: D2680037 00033B9C
	v_cvt_pk_bf16_f32 v56, v158, v159                          // 00000000DDDC: D2680038 00033F9E
	v_cvt_pk_bf16_f32 v57, v160, v161                          // 00000000DDE4: D2680039 000343A0
	v_cvt_pk_bf16_f32 v58, v162, v163                          // 00000000DDEC: D268003A 000347A2
	v_cvt_pk_bf16_f32 v59, v164, v165                          // 00000000DDF4: D268003B 00034BA4
	v_cvt_pk_bf16_f32 v60, v166, v167                          // 00000000DDFC: D268003C 00034FA6
	v_cvt_pk_bf16_f32 v61, v168, v169                          // 00000000DE04: D268003D 000353A8
	v_cvt_pk_bf16_f32 v62, v170, v171                          // 00000000DE0C: D268003E 000357AA
	v_cvt_pk_bf16_f32 v63, v172, v173                          // 00000000DE14: D268003F 00035BAC
	v_cvt_pk_bf16_f32 v64, v174, v175                          // 00000000DE1C: D2680040 00035FAE
	v_cvt_pk_bf16_f32 v65, v176, v177                          // 00000000DE24: D2680041 000363B0
	ds_write_b64 v2, v[50:51]                                  // 00000000DE2C: D89A0000 00003202
	s_mov_b32 s56, 0x208                                       // 00000000DE34: BEB800FF 00000208
	v_add_u32_e32 v2, s56, v2                                  // 00000000DE3C: 68040438
	ds_write_b64 v2, v[52:53]                                  // 00000000DE40: D89A0000 00003402
	s_mov_b32 s56, 0x208                                       // 00000000DE48: BEB800FF 00000208
	v_add_u32_e32 v2, s56, v2                                  // 00000000DE50: 68040438
	ds_write_b64 v2, v[54:55]                                  // 00000000DE54: D89A0000 00003602
	s_mov_b32 s56, 0x208                                       // 00000000DE5C: BEB800FF 00000208
	v_add_u32_e32 v2, s56, v2                                  // 00000000DE64: 68040438
	ds_write_b64 v2, v[56:57]                                  // 00000000DE68: D89A0000 00003802
	s_mov_b32 s56, 0x208                                       // 00000000DE70: BEB800FF 00000208
	v_add_u32_e32 v2, s56, v2                                  // 00000000DE78: 68040438
	ds_write_b64 v2, v[58:59]                                  // 00000000DE7C: D89A0000 00003A02
	s_mov_b32 s56, 0x208                                       // 00000000DE84: BEB800FF 00000208
	v_add_u32_e32 v2, s56, v2                                  // 00000000DE8C: 68040438
	ds_write_b64 v2, v[60:61]                                  // 00000000DE90: D89A0000 00003C02
	s_mov_b32 s56, 0x208                                       // 00000000DE98: BEB800FF 00000208
	v_add_u32_e32 v2, s56, v2                                  // 00000000DEA0: 68040438
	ds_write_b64 v2, v[62:63]                                  // 00000000DEA4: D89A0000 00003E02
	s_mov_b32 s56, 0x208                                       // 00000000DEAC: BEB800FF 00000208
	v_add_u32_e32 v2, s56, v2                                  // 00000000DEB4: 68040438
	ds_write_b64 v2, v[64:65]                                  // 00000000DEB8: D89A0000 00004002
	s_mov_b32 s56, 0x208                                       // 00000000DEC0: BEB800FF 00000208
	v_add_u32_e32 v2, s56, v2                                  // 00000000DEC8: 68040438
	s_mov_b32 s56, 0x100                                       // 00000000DECC: BEB800FF 00000100
	v_mul_i32_i24_e32 v2, s56, v0                              // 00000000DED4: 0C040038
	v_lshrrev_b32_e32 v28, 1, v0                               // 00000000DED8: 20380081
	v_lshlrev_b32_e32 v28, 3, v28                              // 00000000DEDC: 24383883
	v_add_u32_e32 v2, v2, v28                                  // 00000000DEE0: 68043902
	s_mov_b32 s57, 0x80                                        // 00000000DEE4: BEB900FF 00000080
	v_add_u32_e32 v3, s57, v2                                  // 00000000DEEC: 68060439
	s_mov_b32 s57, 0x5000                                      // 00000000DEF0: BEB900FF 00005000
	s_mul_i32 s56, s57, s7                                     // 00000000DEF8: 92380739
	v_add_u32_e32 v2, s56, v2                                  // 00000000DEFC: 68040438
	v_add_u32_e32 v3, s56, v3                                  // 00000000DF00: 68060638
	s_mul_i32 s56, s75, s7                                     // 00000000DF04: 9238074B
	v_lshlrev_b32_e32 v5, 4, v0                                // 00000000DF08: 240A0084
	v_add_u32_e32 v5, s56, v5                                  // 00000000DF0C: 680A0A38
	s_waitcnt lgkmcnt(0)                                       // 00000000DF10: BF8CC07F
	ds_read_b64 v[50:51], v2                                   // 00000000DF14: D8EC0000 32000002
	ds_read_b64 v[52:53], v3                                   // 00000000DF1C: D8EC0000 34000003
	ds_read_b64 v[54:55], v2 offset:8                          // 00000000DF24: D8EC0008 36000002
	ds_read_b64 v[56:57], v3 offset:8                          // 00000000DF2C: D8EC0008 38000003
	s_waitcnt lgkmcnt(2)                                       // 00000000DF34: BF8CC27F
	buffer_store_dwordx4 v[50:53], v5, s[8:11], 0 offen        // 00000000DF38: E07C1000 80023205
	v_add_u32_e32 v5, 0x400, v5                                // 00000000DF40: 680A0AFF 00000400
	ds_read_b64 v[58:59], v2 offset:16                         // 00000000DF48: D8EC0010 3A000002
	ds_read_b64 v[60:61], v3 offset:16                         // 00000000DF50: D8EC0010 3C000003
	s_waitcnt lgkmcnt(2)                                       // 00000000DF58: BF8CC27F
	buffer_store_dwordx4 v[54:57], v5, s[8:11], 0 offen        // 00000000DF5C: E07C1000 80023605
	v_add_u32_e32 v5, 0x400, v5                                // 00000000DF64: 680A0AFF 00000400
	ds_read_b64 v[62:63], v2 offset:24                         // 00000000DF6C: D8EC0018 3E000002
	ds_read_b64 v[64:65], v3 offset:24                         // 00000000DF74: D8EC0018 40000003
	s_waitcnt lgkmcnt(2)                                       // 00000000DF7C: BF8CC27F
	buffer_store_dwordx4 v[58:61], v5, s[8:11], 0 offen        // 00000000DF80: E07C1000 80023A05
	v_add_u32_e32 v5, 0x400, v5                                // 00000000DF88: 680A0AFF 00000400
	s_waitcnt lgkmcnt(0)                                       // 00000000DF90: BF8CC07F
	buffer_store_dwordx4 v[62:65], v5, s[8:11], 0 offen        // 00000000DF94: E07C1000 80023E05
	v_add_u32_e32 v5, 0x400, v5                                // 00000000DF9C: 680A0AFF 00000400
	ds_read_b64 v[66:67], v2 offset:32                         // 00000000DFA4: D8EC0020 42000002
	ds_read_b64 v[68:69], v3 offset:32                         // 00000000DFAC: D8EC0020 44000003
	ds_read_b64 v[70:71], v2 offset:40                         // 00000000DFB4: D8EC0028 46000002
	ds_read_b64 v[72:73], v3 offset:40                         // 00000000DFBC: D8EC0028 48000003
	s_waitcnt lgkmcnt(2)                                       // 00000000DFC4: BF8CC27F
	buffer_store_dwordx4 v[66:69], v5, s[8:11], 0 offen        // 00000000DFC8: E07C1000 80024205
	v_add_u32_e32 v5, 0x400, v5                                // 00000000DFD0: 680A0AFF 00000400
	ds_read_b64 v[74:75], v2 offset:48                         // 00000000DFD8: D8EC0030 4A000002
	ds_read_b64 v[76:77], v3 offset:48                         // 00000000DFE0: D8EC0030 4C000003
	s_waitcnt lgkmcnt(2)                                       // 00000000DFE8: BF8CC27F
	buffer_store_dwordx4 v[70:73], v5, s[8:11], 0 offen        // 00000000DFEC: E07C1000 80024605
	v_add_u32_e32 v5, 0x400, v5                                // 00000000DFF4: 680A0AFF 00000400
	ds_read_b64 v[78:79], v2 offset:56                         // 00000000DFFC: D8EC0038 4E000002
	ds_read_b64 v[80:81], v3 offset:56                         // 00000000E004: D8EC0038 50000003
	s_waitcnt lgkmcnt(2)                                       // 00000000E00C: BF8CC27F
	buffer_store_dwordx4 v[74:77], v5, s[8:11], 0 offen        // 00000000E010: E07C1000 80024A05
	v_add_u32_e32 v5, 0x400, v5                                // 00000000E018: 680A0AFF 00000400
	s_waitcnt lgkmcnt(0)                                       // 00000000E020: BF8CC07F
	buffer_store_dwordx4 v[78:81], v5, s[8:11], 0 offen        // 00000000E024: E07C1000 80024E05
	v_add_u32_e32 v5, 0x400, v5                                // 00000000E02C: 680A0AFF 00000400
	ds_read_b64 v[82:83], v2 offset:64                         // 00000000E034: D8EC0040 52000002
	ds_read_b64 v[84:85], v3 offset:64                         // 00000000E03C: D8EC0040 54000003
	ds_read_b64 v[86:87], v2 offset:72                         // 00000000E044: D8EC0048 56000002
	ds_read_b64 v[88:89], v3 offset:72                         // 00000000E04C: D8EC0048 58000003
	s_waitcnt lgkmcnt(2)                                       // 00000000E054: BF8CC27F
	buffer_store_dwordx4 v[82:85], v5, s[8:11], 0 offen        // 00000000E058: E07C1000 80025205
	v_add_u32_e32 v5, 0x400, v5                                // 00000000E060: 680A0AFF 00000400
	ds_read_b64 v[90:91], v2 offset:80                         // 00000000E068: D8EC0050 5A000002
	ds_read_b64 v[92:93], v3 offset:80                         // 00000000E070: D8EC0050 5C000003
	s_waitcnt lgkmcnt(2)                                       // 00000000E078: BF8CC27F
	buffer_store_dwordx4 v[86:89], v5, s[8:11], 0 offen        // 00000000E07C: E07C1000 80025605
	v_add_u32_e32 v5, 0x400, v5                                // 00000000E084: 680A0AFF 00000400
	ds_read_b64 v[94:95], v2 offset:88                         // 00000000E08C: D8EC0058 5E000002
	ds_read_b64 v[96:97], v3 offset:88                         // 00000000E094: D8EC0058 60000003
	s_waitcnt lgkmcnt(2)                                       // 00000000E09C: BF8CC27F
	buffer_store_dwordx4 v[90:93], v5, s[8:11], 0 offen        // 00000000E0A0: E07C1000 80025A05
	v_add_u32_e32 v5, 0x400, v5                                // 00000000E0A8: 680A0AFF 00000400
	s_waitcnt lgkmcnt(0)                                       // 00000000E0B0: BF8CC07F
	buffer_store_dwordx4 v[94:97], v5, s[8:11], 0 offen        // 00000000E0B4: E07C1000 80025E05
	v_add_u32_e32 v5, 0x400, v5                                // 00000000E0BC: 680A0AFF 00000400
	ds_read_b64 v[98:99], v2 offset:96                         // 00000000E0C4: D8EC0060 62000002
	ds_read_b64 v[100:101], v3 offset:96                       // 00000000E0CC: D8EC0060 64000003
	ds_read_b64 v[102:103], v2 offset:104                      // 00000000E0D4: D8EC0068 66000002
	ds_read_b64 v[104:105], v3 offset:104                      // 00000000E0DC: D8EC0068 68000003
	s_waitcnt lgkmcnt(2)                                       // 00000000E0E4: BF8CC27F
	buffer_store_dwordx4 v[98:101], v5, s[8:11], 0 offen       // 00000000E0E8: E07C1000 80026205
	v_add_u32_e32 v5, 0x400, v5                                // 00000000E0F0: 680A0AFF 00000400
	ds_read_b64 v[106:107], v2 offset:112                      // 00000000E0F8: D8EC0070 6A000002
	ds_read_b64 v[108:109], v3 offset:112                      // 00000000E100: D8EC0070 6C000003
	s_waitcnt lgkmcnt(2)                                       // 00000000E108: BF8CC27F
	buffer_store_dwordx4 v[102:105], v5, s[8:11], 0 offen      // 00000000E10C: E07C1000 80026605
	v_add_u32_e32 v5, 0x400, v5                                // 00000000E114: 680A0AFF 00000400
	ds_read_b64 v[110:111], v2 offset:120                      // 00000000E11C: D8EC0078 6E000002
	ds_read_b64 v[112:113], v3 offset:120                      // 00000000E124: D8EC0078 70000003
	s_waitcnt lgkmcnt(2)                                       // 00000000E12C: BF8CC27F
	buffer_store_dwordx4 v[106:109], v5, s[8:11], 0 offen      // 00000000E130: E07C1000 80026A05
	v_add_u32_e32 v5, 0x400, v5                                // 00000000E138: 680A0AFF 00000400
	s_waitcnt lgkmcnt(0)                                       // 00000000E140: BF8CC07F
	buffer_store_dwordx4 v[110:113], v5, s[8:11], 0 offen      // 00000000E144: E07C1000 80026E05
	v_add_u32_e32 v5, 0x400, v5                                // 00000000E14C: 680A0AFF 00000400

000000000000e154 <label_BE5C>:
	s_waitcnt vmcnt(0) expcnt(0) lgkmcnt(0)                    // 00000000E154: BF8C0000
	s_endpgm                                                   // 00000000E158: BF810000
